;; amdgpu-corpus repo=ROCm/rocFFT kind=compiled arch=gfx950 opt=O3
	.text
	.amdgcn_target "amdgcn-amd-amdhsa--gfx950"
	.amdhsa_code_object_version 6
	.protected	bluestein_single_back_len3456_dim1_dp_op_CI_CI ; -- Begin function bluestein_single_back_len3456_dim1_dp_op_CI_CI
	.globl	bluestein_single_back_len3456_dim1_dp_op_CI_CI
	.p2align	8
	.type	bluestein_single_back_len3456_dim1_dp_op_CI_CI,@function
bluestein_single_back_len3456_dim1_dp_op_CI_CI: ; @bluestein_single_back_len3456_dim1_dp_op_CI_CI
; %bb.0:
	s_load_dwordx4 s[12:15], s[0:1], 0x28
	v_mul_u32_u24_e32 v1, 0x1c8, v0
	v_add_u32_sdwa v250, s2, v1 dst_sel:DWORD dst_unused:UNUSED_PAD src0_sel:DWORD src1_sel:WORD_1
	v_mov_b32_e32 v251, 0
	s_waitcnt lgkmcnt(0)
	v_cmp_gt_u64_e32 vcc, s[12:13], v[250:251]
	s_and_saveexec_b64 s[2:3], vcc
	s_cbranch_execz .LBB0_2
; %bb.1:
	s_load_dwordx4 s[4:7], s[0:1], 0x0
	s_load_dwordx4 s[8:11], s[0:1], 0x18
	s_load_dwordx2 s[2:3], s[0:1], 0x38
	s_movk_i32 s0, 0x90
	v_mul_lo_u16_sdwa v1, v1, s0 dst_sel:DWORD dst_unused:UNUSED_PAD src0_sel:WORD_1 src1_sel:DWORD
	s_mov_b32 s0, 0
	v_mov_b32_e32 v147, s0
	s_waitcnt lgkmcnt(0)
	v_accvgpr_write_b32 a202, s2
	v_accvgpr_write_b32 a203, s3
	s_load_dwordx4 s[0:3], s[10:11], 0x0
	v_sub_u16_e32 v146, v0, v1
	v_mov_b32_e32 v2, s14
	v_mov_b32_e32 v3, s15
	s_movk_i32 s12, 0x2000
	s_waitcnt lgkmcnt(0)
	v_mad_u64_u32 v[4:5], s[10:11], s2, v250, 0
	s_load_dwordx4 s[8:11], s[8:9], 0x0
	v_mov_b32_e32 v0, v5
	v_mad_u64_u32 v[0:1], s[2:3], s3, v250, v[0:1]
	v_mov_b32_e32 v5, v0
	v_accvgpr_write_b32 a127, v5
	s_waitcnt lgkmcnt(0)
	v_mad_u64_u32 v[0:1], s[2:3], s10, v250, 0
	v_accvgpr_write_b32 a126, v4
	v_mov_b32_e32 v4, v1
	v_mad_u64_u32 v[4:5], s[2:3], s11, v250, v[4:5]
	v_mov_b32_e32 v1, v4
	v_mad_u64_u32 v[4:5], s[2:3], s8, v146, 0
	v_mov_b32_e32 v6, v5
	v_mad_u64_u32 v[6:7], s[2:3], s9, v146, v[6:7]
	v_mov_b32_e32 v5, v6
	v_lshl_add_u64 v[16:17], v[0:1], 4, v[2:3]
	v_lshl_add_u64 v[10:11], v[4:5], 4, v[16:17]
	v_lshlrev_b32_e32 v250, 4, v146
	global_load_dwordx4 v[0:3], v[10:11], off
	global_load_dwordx4 v[12:15], v250, s[4:5]
	v_lshl_add_u64 v[4:5], s[4:5], 0, v[250:251]
	v_mov_b32_e32 v22, 0x2400
	s_movk_i32 s16, 0x4000
	s_movk_i32 s21, 0x6000
	s_mov_b32 s22, 0xb000
	s_add_u32 s10, s4, 0xd800
	s_addc_u32 s11, s5, 0
	s_movk_i32 s13, 0x5000
	v_mov_b32_e32 v23, 0xffff5500
	s_movk_i32 s17, 0x1000
	s_movk_i32 s18, 0x3000
	s_mov_b32 s19, 0xa000
	s_mov_b32 s20, 0xc000
	;; [unrolled: 1-line block ×3, first 2 shown]
	s_waitcnt vmcnt(0)
	v_accvgpr_write_b32 a32, v15            ;  Reload Reuse
	v_mul_f64 v[6:7], v[2:3], v[14:15]
	v_fmac_f64_e32 v[6:7], v[0:1], v[12:13]
	v_mul_f64 v[0:1], v[0:1], v[14:15]
	v_fma_f64 v[8:9], v[2:3], v[12:13], -v[0:1]
	v_mov_b32_e32 v0, 0x2400
	v_mad_u64_u32 v[2:3], s[2:3], s8, v0, v[10:11]
	s_mul_i32 s2, s9, 0x2400
	v_add_co_u32_e32 v0, vcc, s12, v4
	v_add_u32_e32 v3, s2, v3
	s_nop 0
	v_addc_co_u32_e32 v1, vcc, 0, v5, vcc
	v_accvgpr_write_b32 a33, v14            ;  Reload Reuse
	scratch_store_dwordx2 off, v[12:13], off offset:12 ; 8-byte Folded Spill
	ds_write_b128 v250, v[6:9]
	global_load_dwordx4 v[6:9], v[2:3], off
	global_load_dwordx4 v[12:15], v[0:1], off offset:1024
	v_mad_u64_u32 v[2:3], s[14:15], s8, v22, v[2:3]
	v_add_u32_e32 v3, s2, v3
	s_mul_i32 s3, s9, 0x4800
	s_waitcnt vmcnt(0)
	scratch_store_dwordx4 off, v[12:15], off offset:36 ; 16-byte Folded Spill
	v_mul_f64 v[10:11], v[8:9], v[14:15]
	v_fmac_f64_e32 v[10:11], v[6:7], v[12:13]
	v_mul_f64 v[6:7], v[6:7], v[14:15]
	v_fma_f64 v[12:13], v[8:9], v[12:13], -v[6:7]
	ds_write_b128 v250, v[10:13] offset:9216
	v_add_co_u32_e32 v10, vcc, s16, v4
	global_load_dwordx4 v[6:9], v[2:3], off
	s_nop 0
	v_addc_co_u32_e32 v11, vcc, 0, v5, vcc
	global_load_dwordx4 v[12:15], v[10:11], off offset:2048
	v_mad_u64_u32 v[2:3], s[14:15], s8, v22, v[2:3]
	v_add_u32_e32 v3, s2, v3
	s_waitcnt vmcnt(0)
	v_mul_f64 v[10:11], v[8:9], v[14:15]
	v_fmac_f64_e32 v[10:11], v[6:7], v[12:13]
	v_mul_f64 v[6:7], v[6:7], v[14:15]
	scratch_store_dwordx4 off, v[12:15], off offset:72 ; 16-byte Folded Spill
	s_nop 1
	v_fma_f64 v[12:13], v[8:9], v[12:13], -v[6:7]
	v_add_co_u32_e32 v6, vcc, s21, v4
	ds_write_b128 v250, v[10:13] offset:18432
	s_nop 0
	v_addc_co_u32_e32 v7, vcc, 0, v5, vcc
	global_load_dwordx4 v[8:11], v[2:3], off
	global_load_dwordx4 v[18:21], v[6:7], off offset:3072
	s_waitcnt vmcnt(0)
	v_mul_f64 v[12:13], v[10:11], v[20:21]
	v_fmac_f64_e32 v[12:13], v[8:9], v[18:19]
	v_mul_f64 v[8:9], v[8:9], v[20:21]
	v_fma_f64 v[14:15], v[10:11], v[18:19], -v[8:9]
	ds_write_b128 v250, v[12:15] offset:27648
	v_or_b32_e32 v12, 0x900, v146
	v_mad_u64_u32 v[8:9], s[14:15], s8, v12, 0
	v_mov_b32_e32 v10, v9
	v_mad_u64_u32 v[10:11], s[14:15], s9, v12, v[10:11]
	v_mov_b32_e32 v9, v10
	v_lshl_add_u64 v[8:9], v[8:9], 4, v[16:17]
	v_lshlrev_b32_e32 v13, 4, v12
	global_load_dwordx4 v[8:11], v[8:9], off
	s_nop 0
	global_load_dwordx4 v[14:17], v13, s[4:5]
	s_nop 0
	scratch_store_dword off, v12, off offset:28 ; 4-byte Folded Spill
	scratch_store_dword off, v13, off       ; 4-byte Folded Spill
	scratch_store_dwordx4 off, v[18:21], off offset:92 ; 16-byte Folded Spill
	s_waitcnt vmcnt(3)
	scratch_store_dwordx4 off, v[14:17], off offset:108 ; 16-byte Folded Spill
	v_mul_f64 v[12:13], v[10:11], v[16:17]
	v_fmac_f64_e32 v[12:13], v[8:9], v[14:15]
	v_mul_f64 v[8:9], v[8:9], v[16:17]
	v_fma_f64 v[14:15], v[10:11], v[14:15], -v[8:9]
	v_mov_b32_e32 v8, 0x4800
	v_mad_u64_u32 v[2:3], s[14:15], s8, v8, v[2:3]
	v_add_co_u32_e32 v16, vcc, s22, v4
	v_add_u32_e32 v3, s3, v3
	s_nop 0
	v_addc_co_u32_e32 v17, vcc, 0, v5, vcc
	global_load_dwordx4 v[8:11], v[2:3], off
	global_load_dwordx4 v[18:21], v[16:17], off offset:1024
	ds_write_b128 v250, v[12:15] offset:36864
	s_mov_b64 s[14:15], 0x90
	s_mul_i32 s3, s9, 0xffff5500
	v_lshl_add_u64 v[96:97], v[146:147], 0, s[14:15]
	s_sub_i32 s3, s3, s8
	v_mul_lo_u16_e32 v97, 6, v146
	v_lshlrev_b32_e32 v97, 4, v97
	s_mov_b32 s9, 0xaaab
	s_waitcnt vmcnt(0)
	scratch_store_dwordx4 off, v[18:21], off offset:132 ; 16-byte Folded Spill
	v_mul_f64 v[12:13], v[10:11], v[20:21]
	v_fmac_f64_e32 v[12:13], v[8:9], v[18:19]
	v_mul_f64 v[8:9], v[8:9], v[20:21]
	v_fma_f64 v[14:15], v[10:11], v[18:19], -v[8:9]
	v_mov_b32_e32 v8, 0xffff5500
	v_mad_u64_u32 v[2:3], s[14:15], s8, v8, v[2:3]
	ds_write_b128 v250, v[12:15] offset:46080
	v_add_u32_e32 v3, s3, v3
	global_load_dwordx4 v[8:11], v[2:3], off
	global_load_dwordx4 v[18:21], v250, s[4:5] offset:2304
	s_movk_i32 s14, 0x7000
	s_mov_b32 s15, 0x9000
	s_waitcnt vmcnt(0)
	v_mul_f64 v[12:13], v[10:11], v[20:21]
	v_fmac_f64_e32 v[12:13], v[8:9], v[18:19]
	v_mul_f64 v[8:9], v[8:9], v[20:21]
	v_fma_f64 v[14:15], v[10:11], v[18:19], -v[8:9]
	ds_write_b128 v250, v[12:15] offset:2304
	v_mad_u64_u32 v[12:13], s[4:5], s8, v22, v[2:3]
	v_accvgpr_write_b32 a37, v21
	v_add_u32_e32 v13, s2, v13
	v_accvgpr_write_b32 a36, v20
	v_accvgpr_write_b32 a35, v19
	;; [unrolled: 1-line block ×3, first 2 shown]
	global_load_dwordx4 v[8:11], v[12:13], off
	global_load_dwordx4 v[18:21], v[0:1], off offset:3328
	v_mad_u64_u32 v[12:13], s[4:5], s8, v22, v[12:13]
	v_add_co_u32_e32 v14, vcc, s13, v4
	v_add_u32_e32 v13, s2, v13
	s_nop 0
	v_addc_co_u32_e32 v15, vcc, 0, v5, vcc
	s_waitcnt vmcnt(0)
	v_mul_f64 v[0:1], v[10:11], v[20:21]
	v_mul_f64 v[2:3], v[8:9], v[20:21]
	v_fmac_f64_e32 v[0:1], v[8:9], v[18:19]
	v_fma_f64 v[2:3], v[10:11], v[18:19], -v[2:3]
	v_accvgpr_write_b32 a41, v21
	v_accvgpr_write_b32 a40, v20
	;; [unrolled: 1-line block ×4, first 2 shown]
	ds_write_b128 v250, v[0:3] offset:11520
	global_load_dwordx4 v[0:3], v[12:13], off
	global_load_dwordx4 v[18:21], v[14:15], off offset:256
	v_mad_u64_u32 v[12:13], s[4:5], s8, v22, v[12:13]
	v_add_u32_e32 v13, s2, v13
	s_waitcnt vmcnt(0)
	v_mul_f64 v[8:9], v[2:3], v[20:21]
	v_fmac_f64_e32 v[8:9], v[0:1], v[18:19]
	v_mul_f64 v[0:1], v[0:1], v[20:21]
	v_accvgpr_write_b32 a45, v21
	v_fma_f64 v[10:11], v[2:3], v[18:19], -v[0:1]
	v_accvgpr_write_b32 a44, v20
	v_accvgpr_write_b32 a43, v19
	;; [unrolled: 1-line block ×3, first 2 shown]
	v_add_co_u32_e32 v18, vcc, s14, v4
	global_load_dwordx4 v[0:3], v[12:13], off
	s_nop 0
	v_addc_co_u32_e32 v19, vcc, 0, v5, vcc
	global_load_dwordx4 v[24:27], v[18:19], off offset:1280
	ds_write_b128 v250, v[8:11] offset:20736
	v_mad_u64_u32 v[12:13], s[4:5], s8, v22, v[12:13]
	v_add_u32_e32 v13, s2, v13
	s_waitcnt vmcnt(0)
	v_mul_f64 v[8:9], v[2:3], v[26:27]
	v_fmac_f64_e32 v[8:9], v[0:1], v[24:25]
	v_mul_f64 v[0:1], v[0:1], v[26:27]
	v_fma_f64 v[10:11], v[2:3], v[24:25], -v[0:1]
	ds_write_b128 v250, v[8:11] offset:29952
	v_add_co_u32_e32 v8, vcc, s15, v4
	v_accvgpr_write_b32 a49, v27
	s_nop 0
	v_addc_co_u32_e32 v9, vcc, 0, v5, vcc
	v_accvgpr_write_b32 a48, v26
	v_accvgpr_write_b32 a47, v25
	;; [unrolled: 1-line block ×3, first 2 shown]
	global_load_dwordx4 v[0:3], v[12:13], off
	global_load_dwordx4 v[24:27], v[8:9], off offset:2304
	v_mad_u64_u32 v[12:13], s[4:5], s8, v22, v[12:13]
	v_add_u32_e32 v13, s2, v13
	s_mov_b64 s[4:5], 0x120
	v_lshl_add_u64 v[102:103], v[146:147], 0, s[4:5]
	s_waitcnt vmcnt(0)
	v_mul_f64 v[8:9], v[2:3], v[26:27]
	v_fmac_f64_e32 v[8:9], v[0:1], v[24:25]
	v_mul_f64 v[0:1], v[0:1], v[26:27]
	v_fma_f64 v[10:11], v[2:3], v[24:25], -v[0:1]
	v_accvgpr_write_b32 a57, v27
	ds_write_b128 v250, v[8:11] offset:39168
	v_accvgpr_write_b32 a56, v26
	v_accvgpr_write_b32 a55, v25
	;; [unrolled: 1-line block ×3, first 2 shown]
	global_load_dwordx4 v[0:3], v[12:13], off
	global_load_dwordx4 v[24:27], v[16:17], off offset:3328
	v_mad_u64_u32 v[12:13], s[4:5], s8, v23, v[12:13]
	v_add_co_u32_e32 v16, vcc, s17, v4
	v_add_u32_e32 v13, s3, v13
	s_nop 0
	v_addc_co_u32_e32 v17, vcc, 0, v5, vcc
	v_add_co_u32_e32 v20, vcc, s18, v4
	s_waitcnt vmcnt(0)
	v_mul_f64 v[8:9], v[2:3], v[26:27]
	v_fmac_f64_e32 v[8:9], v[0:1], v[24:25]
	v_mul_f64 v[0:1], v[0:1], v[26:27]
	v_accvgpr_write_b32 a53, v27
	v_fma_f64 v[10:11], v[2:3], v[24:25], -v[0:1]
	v_accvgpr_write_b32 a52, v26
	v_accvgpr_write_b32 a51, v25
	v_accvgpr_write_b32 a50, v24
	global_load_dwordx4 v[0:3], v[12:13], off
	global_load_dwordx4 v[24:27], v[16:17], off offset:512
	ds_write_b128 v250, v[8:11] offset:48384
	v_mad_u64_u32 v[12:13], s[4:5], s8, v22, v[12:13]
	v_add_u32_e32 v13, s2, v13
	v_addc_co_u32_e32 v21, vcc, 0, v5, vcc
	s_waitcnt vmcnt(0)
	v_mul_f64 v[8:9], v[2:3], v[26:27]
	v_fmac_f64_e32 v[8:9], v[0:1], v[24:25]
	v_mul_f64 v[0:1], v[0:1], v[26:27]
	v_accvgpr_write_b32 a61, v27
	v_fma_f64 v[10:11], v[2:3], v[24:25], -v[0:1]
	v_accvgpr_write_b32 a60, v26
	v_accvgpr_write_b32 a59, v25
	;; [unrolled: 1-line block ×3, first 2 shown]
	global_load_dwordx4 v[0:3], v[12:13], off
	global_load_dwordx4 v[24:27], v[20:21], off offset:1536
	ds_write_b128 v250, v[8:11] offset:4608
	v_mad_u64_u32 v[12:13], s[4:5], s8, v22, v[12:13]
	v_add_u32_e32 v13, s2, v13
	s_waitcnt vmcnt(0)
	v_mul_f64 v[8:9], v[2:3], v[26:27]
	v_fmac_f64_e32 v[8:9], v[0:1], v[24:25]
	v_mul_f64 v[0:1], v[0:1], v[26:27]
	v_fma_f64 v[10:11], v[2:3], v[24:25], -v[0:1]
	v_accvgpr_write_b32 a73, v27
	ds_write_b128 v250, v[8:11] offset:13824
	v_accvgpr_write_b32 a72, v26
	v_accvgpr_write_b32 a71, v25
	;; [unrolled: 1-line block ×3, first 2 shown]
	global_load_dwordx4 v[0:3], v[12:13], off
	global_load_dwordx4 v[24:27], v[14:15], off offset:2560
	v_mad_u64_u32 v[12:13], s[4:5], s8, v22, v[12:13]
	v_add_u32_e32 v13, s2, v13
	s_waitcnt vmcnt(0)
	v_mul_f64 v[8:9], v[2:3], v[26:27]
	v_fmac_f64_e32 v[8:9], v[0:1], v[24:25]
	v_mul_f64 v[0:1], v[0:1], v[26:27]
	v_fma_f64 v[10:11], v[2:3], v[24:25], -v[0:1]
	v_accvgpr_write_b32 a65, v27
	ds_write_b128 v250, v[8:11] offset:23040
	v_accvgpr_write_b32 a64, v26
	v_accvgpr_write_b32 a63, v25
	;; [unrolled: 1-line block ×3, first 2 shown]
	global_load_dwordx4 v[0:3], v[12:13], off
	global_load_dwordx4 v[24:27], v[18:19], off offset:3584
	s_waitcnt vmcnt(0)
	v_mul_f64 v[8:9], v[2:3], v[26:27]
	v_fmac_f64_e32 v[8:9], v[0:1], v[24:25]
	v_mul_f64 v[0:1], v[0:1], v[26:27]
	v_fma_f64 v[10:11], v[2:3], v[24:25], -v[0:1]
	ds_write_b128 v250, v[8:11] offset:32256
	v_mad_u64_u32 v[8:9], s[4:5], s8, v22, v[12:13]
	v_add_co_u32_e32 v10, vcc, s19, v4
	v_accvgpr_write_b32 a69, v27
	v_add_u32_e32 v9, s2, v9
	v_addc_co_u32_e32 v11, vcc, 0, v5, vcc
	v_accvgpr_write_b32 a68, v26
	v_accvgpr_write_b32 a67, v25
	;; [unrolled: 1-line block ×3, first 2 shown]
	global_load_dwordx4 v[0:3], v[8:9], off
	global_load_dwordx4 v[24:27], v[10:11], off offset:512
	v_mad_u64_u32 v[18:19], s[4:5], s8, v22, v[8:9]
	v_add_co_u32_e32 v8, vcc, s20, v4
	v_add_u32_e32 v19, s2, v19
	s_nop 0
	v_addc_co_u32_e32 v9, vcc, 0, v5, vcc
	s_mov_b64 s[4:5], 0x1b0
	v_lshl_add_u64 v[98:99], v[146:147], 0, s[4:5]
	v_add_co_u32_e32 v4, vcc, s23, v4
	s_waitcnt vmcnt(0)
	v_mul_f64 v[12:13], v[2:3], v[26:27]
	v_fmac_f64_e32 v[12:13], v[0:1], v[24:25]
	v_mul_f64 v[0:1], v[0:1], v[26:27]
	v_accvgpr_write_b32 a77, v27
	v_fma_f64 v[14:15], v[2:3], v[24:25], -v[0:1]
	v_accvgpr_write_b32 a76, v26
	v_accvgpr_write_b32 a75, v25
	v_accvgpr_write_b32 a74, v24
	global_load_dwordx4 v[0:3], v[18:19], off
	global_load_dwordx4 v[24:27], v[8:9], off offset:1536
	ds_write_b128 v250, v[12:15] offset:41472
	v_mad_u64_u32 v[18:19], s[4:5], s8, v23, v[18:19]
	v_add_u32_e32 v19, s3, v19
	v_addc_co_u32_e32 v5, vcc, 0, v5, vcc
	s_waitcnt vmcnt(0)
	v_mul_f64 v[12:13], v[2:3], v[26:27]
	v_fmac_f64_e32 v[12:13], v[0:1], v[24:25]
	v_mul_f64 v[0:1], v[0:1], v[26:27]
	v_fma_f64 v[14:15], v[2:3], v[24:25], -v[0:1]
	v_accvgpr_write_b32 a81, v27
	ds_write_b128 v250, v[12:15] offset:50688
	v_accvgpr_write_b32 a80, v26
	v_accvgpr_write_b32 a79, v25
	;; [unrolled: 1-line block ×3, first 2 shown]
	global_load_dwordx4 v[0:3], v[18:19], off
	global_load_dwordx4 v[24:27], v[16:17], off offset:2816
	v_mad_u64_u32 v[16:17], s[4:5], s8, v22, v[18:19]
	v_add_u32_e32 v17, s2, v17
	s_waitcnt vmcnt(0)
	v_mul_f64 v[12:13], v[2:3], v[26:27]
	v_fmac_f64_e32 v[12:13], v[0:1], v[24:25]
	v_mul_f64 v[0:1], v[0:1], v[26:27]
	v_fma_f64 v[14:15], v[2:3], v[24:25], -v[0:1]
	v_accvgpr_write_b32 a85, v27
	ds_write_b128 v250, v[12:15] offset:6912
	v_accvgpr_write_b32 a84, v26
	v_accvgpr_write_b32 a83, v25
	;; [unrolled: 1-line block ×3, first 2 shown]
	global_load_dwordx4 v[0:3], v[16:17], off
	global_load_dwordx4 v[24:27], v[20:21], off offset:3840
	s_waitcnt vmcnt(0)
	v_mul_f64 v[12:13], v[2:3], v[26:27]
	v_fmac_f64_e32 v[12:13], v[0:1], v[24:25]
	v_mul_f64 v[0:1], v[0:1], v[26:27]
	v_fma_f64 v[14:15], v[2:3], v[24:25], -v[0:1]
	ds_write_b128 v250, v[12:15] offset:16128
	v_mad_u64_u32 v[12:13], s[4:5], s8, v22, v[16:17]
	v_add_u32_e32 v13, s2, v13
	global_load_dwordx4 v[0:3], v[12:13], off
	global_load_dwordx4 v[18:21], v[6:7], off offset:768
	v_mad_u64_u32 v[12:13], s[4:5], s8, v22, v[12:13]
	v_add_u32_e32 v13, s2, v13
	v_accvgpr_write_b32 a89, v27
	v_accvgpr_write_b32 a88, v26
	v_accvgpr_write_b32 a87, v25
	v_accvgpr_write_b32 a86, v24
	s_waitcnt vmcnt(0)
	v_mul_f64 v[14:15], v[2:3], v[20:21]
	v_fmac_f64_e32 v[14:15], v[0:1], v[18:19]
	v_mul_f64 v[0:1], v[0:1], v[20:21]
	v_fma_f64 v[16:17], v[2:3], v[18:19], -v[0:1]
	ds_write_b128 v250, v[14:17] offset:25344
	global_load_dwordx4 v[0:3], v[12:13], off
	global_load_dwordx4 v[14:17], v[4:5], off offset:1792
	v_mad_u64_u32 v[12:13], s[4:5], s8, v22, v[12:13]
	v_add_u32_e32 v13, s2, v13
	v_accvgpr_write_b32 a93, v21
	v_accvgpr_write_b32 a92, v20
	;; [unrolled: 1-line block ×4, first 2 shown]
	s_waitcnt vmcnt(0)
	v_mul_f64 v[4:5], v[2:3], v[16:17]
	v_fmac_f64_e32 v[4:5], v[0:1], v[14:15]
	v_mul_f64 v[0:1], v[0:1], v[16:17]
	v_fma_f64 v[6:7], v[2:3], v[14:15], -v[0:1]
	v_accvgpr_write_b32 a97, v17
	ds_write_b128 v250, v[4:7] offset:34560
	v_accvgpr_write_b32 a96, v16
	v_accvgpr_write_b32 a95, v15
	v_accvgpr_write_b32 a94, v14
	global_load_dwordx4 v[0:3], v[12:13], off
	global_load_dwordx4 v[14:17], v[10:11], off offset:2816
	s_waitcnt vmcnt(0)
	v_mul_f64 v[4:5], v[2:3], v[16:17]
	v_fmac_f64_e32 v[4:5], v[0:1], v[14:15]
	v_mul_f64 v[0:1], v[0:1], v[16:17]
	v_fma_f64 v[6:7], v[2:3], v[14:15], -v[0:1]
	ds_write_b128 v250, v[4:7] offset:43776
	v_mad_u64_u32 v[4:5], s[4:5], s8, v22, v[12:13]
	v_add_u32_e32 v5, s2, v5
	global_load_dwordx4 v[0:3], v[4:5], off
	global_load_dwordx4 v[10:13], v[8:9], off offset:3840
	v_accvgpr_write_b32 a101, v17
	v_accvgpr_write_b32 a100, v16
	;; [unrolled: 1-line block ×4, first 2 shown]
	s_mov_b32 s2, 0xe8584caa
	s_mov_b32 s3, 0x3febb67a
	;; [unrolled: 1-line block ×4, first 2 shown]
	s_movk_i32 s8, 0xab
	s_waitcnt vmcnt(0)
	v_mul_f64 v[4:5], v[2:3], v[12:13]
	v_fmac_f64_e32 v[4:5], v[0:1], v[10:11]
	v_mul_f64 v[0:1], v[0:1], v[12:13]
	v_fma_f64 v[6:7], v[2:3], v[10:11], -v[0:1]
	scratch_store_dwordx4 off, v[10:13], off offset:52 ; 16-byte Folded Spill
	ds_write_b128 v250, v[4:7] offset:52992
	s_waitcnt lgkmcnt(0)
	s_barrier
	ds_read_b128 v[20:23], v250
	ds_read_b128 v[28:31], v250 offset:9216
	ds_read_b128 v[56:59], v250 offset:18432
	;; [unrolled: 1-line block ×23, first 2 shown]
	s_waitcnt lgkmcnt(14)
	v_add_f64 v[104:105], v[56:57], v[80:81]
	v_add_f64 v[100:101], v[20:21], v[56:57]
	v_fmac_f64_e32 v[20:21], -0.5, v[104:105]
	v_add_f64 v[104:105], v[58:59], -v[82:83]
	v_fma_f64 v[106:107], s[2:3], v[104:105], v[20:21]
	v_fmac_f64_e32 v[20:21], s[4:5], v[104:105]
	v_add_f64 v[104:105], v[22:23], v[58:59]
	v_add_f64 v[58:59], v[58:59], v[82:83]
	v_fmac_f64_e32 v[22:23], -0.5, v[58:59]
	v_add_f64 v[56:57], v[56:57], -v[80:81]
	v_fma_f64 v[108:109], s[4:5], v[56:57], v[22:23]
	v_fmac_f64_e32 v[22:23], s[2:3], v[56:57]
	v_add_f64 v[56:57], v[28:29], v[48:49]
	v_add_f64 v[100:101], v[100:101], v[80:81]
	;; [unrolled: 1-line block ×4, first 2 shown]
	v_fmac_f64_e32 v[28:29], -0.5, v[56:57]
	v_add_f64 v[56:57], v[50:51], -v[54:55]
	v_fma_f64 v[58:59], s[2:3], v[56:57], v[28:29]
	v_fmac_f64_e32 v[28:29], s[4:5], v[56:57]
	v_add_f64 v[56:57], v[30:31], v[50:51]
	v_add_f64 v[50:51], v[50:51], v[54:55]
	v_fmac_f64_e32 v[30:31], -0.5, v[50:51]
	v_add_f64 v[48:49], v[48:49], -v[52:53]
	v_add_f64 v[104:105], v[104:105], v[82:83]
	v_add_f64 v[82:83], v[56:57], v[54:55]
	v_fma_f64 v[54:55], s[4:5], v[48:49], v[30:31]
	v_fmac_f64_e32 v[30:31], s[2:3], v[48:49]
	v_mul_f64 v[110:111], v[54:55], s[2:3]
	v_add_f64 v[50:51], v[104:105], v[82:83]
	v_add_f64 v[82:83], v[104:105], -v[82:83]
	s_waitcnt lgkmcnt(13)
	v_add_f64 v[104:105], v[68:69], v[76:77]
	v_add_f64 v[48:49], v[100:101], v[80:81]
	v_fmac_f64_e32 v[110:111], 0.5, v[58:59]
	v_mul_f64 v[116:117], v[30:31], -0.5
	v_add_f64 v[80:81], v[100:101], -v[80:81]
	v_add_f64 v[100:101], v[12:13], v[68:69]
	v_fmac_f64_e32 v[12:13], -0.5, v[104:105]
	v_add_f64 v[104:105], v[70:71], -v[78:79]
	v_add_f64 v[52:53], v[106:107], v[110:111]
	v_mul_f64 v[112:113], v[28:29], -0.5
	v_fmac_f64_e32 v[116:117], s[4:5], v[28:29]
	v_add_f64 v[28:29], v[106:107], -v[110:111]
	v_fma_f64 v[106:107], s[2:3], v[104:105], v[12:13]
	v_fmac_f64_e32 v[12:13], s[4:5], v[104:105]
	v_add_f64 v[104:105], v[14:15], v[70:71]
	v_add_f64 v[70:71], v[70:71], v[78:79]
	v_fmac_f64_e32 v[14:15], -0.5, v[70:71]
	v_add_f64 v[68:69], v[68:69], -v[76:77]
	v_add_f64 v[104:105], v[104:105], v[78:79]
	v_fma_f64 v[78:79], s[4:5], v[68:69], v[14:15]
	v_fmac_f64_e32 v[14:15], s[2:3], v[68:69]
	v_add_f64 v[68:69], v[24:25], v[40:41]
	v_add_f64 v[100:101], v[100:101], v[76:77]
	s_waitcnt lgkmcnt(12)
	v_add_f64 v[76:77], v[68:69], v[44:45]
	v_add_f64 v[68:69], v[40:41], v[44:45]
	v_fmac_f64_e32 v[24:25], -0.5, v[68:69]
	v_add_f64 v[68:69], v[42:43], -v[46:47]
	v_mul_f64 v[114:115], v[58:59], s[4:5]
	v_fma_f64 v[70:71], s[2:3], v[68:69], v[24:25]
	v_fmac_f64_e32 v[24:25], s[4:5], v[68:69]
	v_add_f64 v[68:69], v[26:27], v[42:43]
	v_add_f64 v[42:43], v[42:43], v[46:47]
	v_fmac_f64_e32 v[112:113], s[2:3], v[30:31]
	v_fmac_f64_e32 v[114:115], 0.5, v[54:55]
	v_fmac_f64_e32 v[26:27], -0.5, v[42:43]
	v_add_f64 v[40:41], v[40:41], -v[44:45]
	v_add_f64 v[56:57], v[20:21], v[112:113]
	v_add_f64 v[54:55], v[108:109], v[114:115]
	v_add_f64 v[20:21], v[20:21], -v[112:113]
	v_add_f64 v[30:31], v[108:109], -v[114:115]
	v_add_f64 v[108:109], v[68:69], v[46:47]
	v_fma_f64 v[46:47], s[4:5], v[40:41], v[26:27]
	v_fmac_f64_e32 v[26:27], s[2:3], v[40:41]
	v_mul_f64 v[112:113], v[24:25], -0.5
	v_add_f64 v[58:59], v[22:23], v[116:117]
	v_add_f64 v[22:23], v[22:23], -v[116:117]
	v_mul_f64 v[110:111], v[46:47], s[2:3]
	v_fmac_f64_e32 v[112:113], s[2:3], v[26:27]
	v_add_f64 v[42:43], v[104:105], v[108:109]
	v_mul_f64 v[116:117], v[26:27], -0.5
	v_add_f64 v[26:27], v[104:105], -v[108:109]
	s_waitcnt lgkmcnt(7)
	v_add_f64 v[104:105], v[72:73], v[92:93]
	v_add_f64 v[40:41], v[100:101], v[76:77]
	v_fmac_f64_e32 v[110:111], 0.5, v[70:71]
	v_fmac_f64_e32 v[116:117], s[4:5], v[24:25]
	v_add_f64 v[24:25], v[100:101], -v[76:77]
	v_add_f64 v[100:101], v[4:5], v[72:73]
	v_fmac_f64_e32 v[4:5], -0.5, v[104:105]
	v_add_f64 v[104:105], v[74:75], -v[94:95]
	v_add_f64 v[44:45], v[106:107], v[110:111]
	v_add_f64 v[76:77], v[106:107], -v[110:111]
	v_fma_f64 v[106:107], s[2:3], v[104:105], v[4:5]
	v_fmac_f64_e32 v[4:5], s[4:5], v[104:105]
	v_add_f64 v[104:105], v[6:7], v[74:75]
	v_add_f64 v[74:75], v[74:75], v[94:95]
	v_fmac_f64_e32 v[6:7], -0.5, v[74:75]
	v_add_f64 v[72:73], v[72:73], -v[92:93]
	v_add_f64 v[104:105], v[104:105], v[94:95]
	v_fma_f64 v[94:95], s[4:5], v[72:73], v[6:7]
	v_fmac_f64_e32 v[6:7], s[2:3], v[72:73]
	v_add_f64 v[72:73], v[16:17], v[60:61]
	v_add_f64 v[100:101], v[100:101], v[92:93]
	s_waitcnt lgkmcnt(6)
	v_add_f64 v[92:93], v[72:73], v[88:89]
	v_add_f64 v[72:73], v[60:61], v[88:89]
	v_fmac_f64_e32 v[16:17], -0.5, v[72:73]
	v_add_f64 v[72:73], v[62:63], -v[90:91]
	v_fma_f64 v[74:75], s[2:3], v[72:73], v[16:17]
	v_fmac_f64_e32 v[16:17], s[4:5], v[72:73]
	v_add_f64 v[72:73], v[18:19], v[62:63]
	v_add_f64 v[62:63], v[62:63], v[90:91]
	v_fmac_f64_e32 v[18:19], -0.5, v[62:63]
	v_add_f64 v[60:61], v[60:61], -v[88:89]
	v_add_f64 v[68:69], v[12:13], v[112:113]
	v_add_f64 v[12:13], v[12:13], -v[112:113]
	v_add_f64 v[108:109], v[72:73], v[90:91]
	v_fma_f64 v[90:91], s[4:5], v[60:61], v[18:19]
	v_fmac_f64_e32 v[18:19], s[2:3], v[60:61]
	v_mul_f64 v[112:113], v[16:17], -0.5
	v_mul_f64 v[114:115], v[70:71], s[4:5]
	v_add_f64 v[70:71], v[14:15], v[116:117]
	v_add_f64 v[14:15], v[14:15], -v[116:117]
	v_mul_f64 v[110:111], v[90:91], s[2:3]
	v_fmac_f64_e32 v[112:113], s[2:3], v[18:19]
	v_add_f64 v[62:63], v[104:105], v[108:109]
	v_mul_f64 v[116:117], v[18:19], -0.5
	v_add_f64 v[18:19], v[104:105], -v[108:109]
	s_waitcnt lgkmcnt(1)
	v_add_f64 v[104:105], v[36:37], v[84:85]
	v_add_f64 v[60:61], v[100:101], v[92:93]
	v_fmac_f64_e32 v[110:111], 0.5, v[74:75]
	v_fmac_f64_e32 v[116:117], s[4:5], v[16:17]
	v_add_f64 v[16:17], v[100:101], -v[92:93]
	v_add_f64 v[100:101], v[0:1], v[36:37]
	v_fmac_f64_e32 v[0:1], -0.5, v[104:105]
	v_add_f64 v[104:105], v[38:39], -v[86:87]
	v_add_f64 v[72:73], v[106:107], v[110:111]
	v_add_f64 v[92:93], v[106:107], -v[110:111]
	v_fma_f64 v[106:107], s[2:3], v[104:105], v[0:1]
	v_fmac_f64_e32 v[0:1], s[4:5], v[104:105]
	v_add_f64 v[104:105], v[2:3], v[38:39]
	v_add_f64 v[38:39], v[38:39], v[86:87]
	v_fmac_f64_e32 v[2:3], -0.5, v[38:39]
	v_add_f64 v[36:37], v[36:37], -v[84:85]
	v_add_f64 v[104:105], v[104:105], v[86:87]
	v_fma_f64 v[86:87], s[4:5], v[36:37], v[2:3]
	v_fmac_f64_e32 v[2:3], s[2:3], v[36:37]
	v_add_f64 v[36:37], v[8:9], v[32:33]
	v_add_f64 v[100:101], v[100:101], v[84:85]
	s_waitcnt lgkmcnt(0)
	v_add_f64 v[84:85], v[36:37], v[64:65]
	v_add_f64 v[36:37], v[32:33], v[64:65]
	v_fmac_f64_e32 v[8:9], -0.5, v[36:37]
	v_add_f64 v[36:37], v[34:35], -v[66:67]
	v_fmac_f64_e32 v[114:115], 0.5, v[46:47]
	v_fma_f64 v[38:39], s[2:3], v[36:37], v[8:9]
	v_fmac_f64_e32 v[8:9], s[4:5], v[36:37]
	v_add_f64 v[36:37], v[10:11], v[34:35]
	v_add_f64 v[34:35], v[34:35], v[66:67]
	s_barrier
	scratch_store_dword off, v97, off offset:8 ; 4-byte Folded Spill
	ds_write_b128 v97, v[48:51]
	ds_write_b128 v97, v[52:55] offset:16
	ds_write_b128 v97, v[56:59] offset:32
	ds_write_b128 v97, v[80:83] offset:48
	ds_write_b128 v97, v[28:31] offset:64
	ds_write_b128 v97, v[20:23] offset:80
	v_mul_u32_u24_e32 v20, 6, v96
	v_mul_lo_u16_sdwa v97, v146, s8 dst_sel:DWORD dst_unused:UNUSED_PAD src0_sel:BYTE_0 src1_sel:DWORD
	v_add_f64 v[46:47], v[78:79], v[114:115]
	v_add_f64 v[78:79], v[78:79], -v[114:115]
	v_mul_f64 v[114:115], v[74:75], s[4:5]
	v_fmac_f64_e32 v[10:11], -0.5, v[34:35]
	v_add_f64 v[32:33], v[32:33], -v[64:65]
	v_lshlrev_b32_e32 v20, 4, v20
	v_lshrrev_b16_e32 v97, 10, v97
	v_fmac_f64_e32 v[114:115], 0.5, v[90:91]
	v_add_f64 v[108:109], v[36:37], v[66:67]
	v_fma_f64 v[66:67], s[4:5], v[32:33], v[10:11]
	v_fmac_f64_e32 v[10:11], s[2:3], v[32:33]
	scratch_store_dword off, v20, off offset:4 ; 4-byte Folded Spill
	ds_write_b128 v20, v[40:43]
	ds_write_b128 v20, v[44:47] offset:16
	ds_write_b128 v20, v[68:71] offset:32
	;; [unrolled: 1-line block ×5, first 2 shown]
	v_mul_u32_u24_e32 v12, 6, v102
	v_mul_lo_u16_e32 v99, 6, v97
	v_add_f64 v[88:89], v[4:5], v[112:113]
	v_add_f64 v[74:75], v[94:95], v[114:115]
	;; [unrolled: 1-line block ×3, first 2 shown]
	v_add_f64 v[4:5], v[4:5], -v[112:113]
	v_add_f64 v[94:95], v[94:95], -v[114:115]
	;; [unrolled: 1-line block ×3, first 2 shown]
	v_mul_f64 v[110:111], v[66:67], s[2:3]
	v_mul_f64 v[112:113], v[8:9], -0.5
	v_mul_f64 v[114:115], v[38:39], s[4:5]
	v_mul_f64 v[116:117], v[10:11], -0.5
	v_lshlrev_b32_e32 v245, 4, v12
	v_sub_u16_e32 v99, v146, v99
	v_fmac_f64_e32 v[110:111], 0.5, v[38:39]
	v_fmac_f64_e32 v[112:113], s[2:3], v[10:11]
	v_add_f64 v[34:35], v[104:105], v[108:109]
	v_fmac_f64_e32 v[114:115], 0.5, v[66:67]
	v_fmac_f64_e32 v[116:117], s[4:5], v[8:9]
	v_add_f64 v[10:11], v[104:105], -v[108:109]
	ds_write_b128 v245, v[60:63]
	ds_write_b128 v245, v[72:75] offset:16
	ds_write_b128 v245, v[88:91] offset:32
	;; [unrolled: 1-line block ×5, first 2 shown]
	v_mul_u32_u24_e32 v4, 6, v98
	v_and_b32_e32 v99, 0xff, v99
	s_movk_i32 s8, 0x50
	v_mov_b64_e32 v[104:105], s[6:7]
	v_add_f64 v[32:33], v[100:101], v[84:85]
	v_add_f64 v[36:37], v[106:107], v[110:111]
	;; [unrolled: 1-line block ×5, first 2 shown]
	v_add_f64 v[8:9], v[100:101], -v[84:85]
	v_add_f64 v[84:85], v[106:107], -v[110:111]
	;; [unrolled: 1-line block ×5, first 2 shown]
	v_lshlrev_b32_e32 v244, 4, v4
	v_mad_u64_u32 v[100:101], s[24:25], v99, s8, v[104:105]
	ds_write_b128 v244, v[32:35]
	ds_write_b128 v244, v[36:39] offset:16
	ds_write_b128 v244, v[64:67] offset:32
	;; [unrolled: 1-line block ×5, first 2 shown]
	s_waitcnt lgkmcnt(0)
	s_barrier
	ds_read_b128 v[12:15], v250
	ds_read_b128 v[92:95], v250 offset:9216
	ds_read_b128 v[88:91], v250 offset:18432
	;; [unrolled: 1-line block ×23, first 2 shown]
	global_load_dwordx4 v[252:255], v[100:101], off offset:48
	global_load_dwordx4 v[114:117], v[100:101], off offset:32
	;; [unrolled: 1-line block ×3, first 2 shown]
	global_load_dwordx4 v[122:125], v[100:101], off
	v_mul_u32_u24_e32 v97, 36, v97
	v_add_lshl_u32 v97, v97, v99, 4
	s_waitcnt vmcnt(3) lgkmcnt(14)
	v_mul_f64 v[138:139], v[80:81], v[254:255]
	v_fmac_f64_e32 v[138:139], v[82:83], v[252:253]
	s_waitcnt vmcnt(1)
	v_mul_f64 v[130:131], v[88:89], v[120:121]
	s_waitcnt vmcnt(0)
	v_mul_f64 v[106:107], v[94:95], v[124:125]
	v_fma_f64 v[108:109], v[92:93], v[122:123], -v[106:107]
	v_mul_f64 v[112:113], v[92:93], v[124:125]
	v_mul_f64 v[92:93], v[90:91], v[120:121]
	v_fma_f64 v[126:127], v[88:89], v[118:119], -v[92:93]
	v_fmac_f64_e32 v[130:131], v[90:91], v[118:119]
	v_mov_b64_e32 v[90:91], v[114:115]
	v_mov_b64_e32 v[92:93], v[116:117]
	v_accvgpr_write_b32 a110, v118
	v_mul_f64 v[88:89], v[86:87], v[92:93]
	v_accvgpr_write_b32 a111, v119
	v_accvgpr_write_b32 a112, v120
	;; [unrolled: 1-line block ×3, first 2 shown]
	v_fma_f64 v[114:115], v[84:85], v[90:91], -v[88:89]
	v_mul_f64 v[118:119], v[84:85], v[92:93]
	v_mul_f64 v[84:85], v[82:83], v[254:255]
	v_fma_f64 v[134:135], v[80:81], v[252:253], -v[84:85]
	global_load_dwordx4 v[82:85], v[100:101], off offset:64
	v_accvgpr_write_b32 a114, v122
	v_fmac_f64_e32 v[112:113], v[94:95], v[122:123]
	v_accvgpr_write_b32 a115, v123
	v_accvgpr_write_b32 a116, v124
	;; [unrolled: 1-line block ×4, first 2 shown]
	v_fmac_f64_e32 v[118:119], v[86:87], v[90:91]
	v_accvgpr_write_b32 a108, v92
	v_accvgpr_write_b32 a107, v91
	;; [unrolled: 1-line block ×3, first 2 shown]
	s_waitcnt vmcnt(0)
	v_mul_f64 v[80:81], v[78:79], v[84:85]
	v_fma_f64 v[122:123], v[76:77], v[82:83], -v[80:81]
	v_mul_f64 v[124:125], v[76:77], v[84:85]
	v_mul_u32_u24_sdwa v76, v96, s9 dst_sel:DWORD dst_unused:UNUSED_PAD src0_sel:WORD_0 src1_sel:DWORD
	v_lshrrev_b32_e32 v100, 18, v76
	v_mul_lo_u16_e32 v76, 6, v100
	v_sub_u16_e32 v101, v96, v76
	v_mul_lo_u16_e32 v76, 0x50, v101
	v_mov_b32_e32 v77, v251
	v_accvgpr_write_b32 a105, v85
	v_lshl_add_u64 v[76:77], s[6:7], 0, v[76:77]
	v_fmac_f64_e32 v[124:125], v[78:79], v[82:83]
	v_accvgpr_write_b32 a104, v84
	v_accvgpr_write_b32 a103, v83
	;; [unrolled: 1-line block ×3, first 2 shown]
	global_load_dwordx4 v[80:83], v[76:77], off offset:48
	global_load_dwordx4 v[84:87], v[76:77], off offset:32
	;; [unrolled: 1-line block ×3, first 2 shown]
	global_load_dwordx4 v[92:95], v[76:77], off
	s_waitcnt vmcnt(3) lgkmcnt(13)
	v_mul_f64 v[140:141], v[60:61], v[82:83]
	s_waitcnt vmcnt(2)
	v_mul_f64 v[120:121], v[64:65], v[86:87]
	s_waitcnt vmcnt(1)
	;; [unrolled: 2-line block ×3, first 2 shown]
	v_mul_f64 v[78:79], v[74:75], v[94:95]
	v_fma_f64 v[106:107], v[72:73], v[92:93], -v[78:79]
	v_mul_f64 v[110:111], v[72:73], v[94:95]
	v_mul_f64 v[72:73], v[70:71], v[90:91]
	v_fma_f64 v[128:129], v[68:69], v[88:89], -v[72:73]
	v_mul_f64 v[68:69], v[66:67], v[86:87]
	v_fma_f64 v[116:117], v[64:65], v[84:85], -v[68:69]
	;; [unrolled: 2-line block ×3, first 2 shown]
	v_fmac_f64_e32 v[140:141], v[62:63], v[80:81]
	global_load_dwordx4 v[62:65], v[76:77], off offset:64
	v_accvgpr_write_b32 a125, v83
	v_fmac_f64_e32 v[110:111], v[74:75], v[92:93]
	v_accvgpr_write_b32 a124, v82
	v_accvgpr_write_b32 a123, v81
	v_accvgpr_write_b32 a122, v80
	v_fmac_f64_e32 v[120:121], v[66:67], v[84:85]
	v_fmac_f64_e32 v[132:133], v[70:71], v[88:89]
	v_accvgpr_write_b32 a121, v91
	v_accvgpr_write_b32 a131, v87
	;; [unrolled: 1-line block ×12, first 2 shown]
	s_waitcnt vmcnt(0) lgkmcnt(12)
	v_mul_f64 v[60:61], v[58:59], v[64:65]
	v_fma_f64 v[142:143], v[56:57], v[62:63], -v[60:61]
	v_mul_f64 v[144:145], v[56:57], v[64:65]
	v_mul_u32_u24_sdwa v56, v102, s9 dst_sel:DWORD dst_unused:UNUSED_PAD src0_sel:WORD_0 src1_sel:DWORD
	v_lshrrev_b32_e32 v103, 18, v56
	v_mul_lo_u16_e32 v56, 6, v103
	v_sub_u16_e32 v148, v102, v56
	v_mul_lo_u16_e32 v56, 0x50, v148
	v_mov_b32_e32 v57, v251
	v_accvgpr_write_b32 a139, v65
	v_lshl_add_u64 v[60:61], s[6:7], 0, v[56:57]
	v_fmac_f64_e32 v[144:145], v[58:59], v[62:63]
	v_accvgpr_write_b32 a138, v64
	v_accvgpr_write_b32 a137, v63
	;; [unrolled: 1-line block ×3, first 2 shown]
	global_load_dwordx4 v[72:75], v[60:61], off offset:48
	global_load_dwordx4 v[76:79], v[60:61], off offset:32
	;; [unrolled: 1-line block ×3, first 2 shown]
	global_load_dwordx4 v[80:83], v[60:61], off
	s_waitcnt vmcnt(2) lgkmcnt(8)
	v_mul_f64 v[58:59], v[44:45], v[78:79]
	v_fmac_f64_e32 v[58:59], v[46:47], v[76:77]
	s_waitcnt vmcnt(0)
	v_mul_f64 v[56:57], v[54:55], v[82:83]
	v_mul_f64 v[68:69], v[52:53], v[82:83]
	v_fma_f64 v[66:67], v[52:53], v[80:81], -v[56:57]
	v_fmac_f64_e32 v[68:69], v[54:55], v[80:81]
	v_mov_b64_e32 v[54:55], v[62:63]
	v_mov_b64_e32 v[56:57], v[64:65]
	v_mul_f64 v[52:53], v[50:51], v[56:57]
	v_fma_f64 v[64:65], v[48:49], v[54:55], -v[52:53]
	v_mul_f64 v[70:71], v[48:49], v[56:57]
	v_accvgpr_write_b32 a167, v57
	v_mul_f64 v[48:49], v[46:47], v[78:79]
	v_accvgpr_write_b32 a166, v56
	v_accvgpr_write_b32 a165, v55
	;; [unrolled: 1-line block ×3, first 2 shown]
	v_fma_f64 v[56:57], v[44:45], v[76:77], -v[48:49]
	v_mov_b64_e32 v[46:47], v[72:73]
	v_mov_b64_e32 v[48:49], v[74:75]
	s_waitcnt lgkmcnt(7)
	v_mul_f64 v[44:45], v[42:43], v[48:49]
	v_mul_f64 v[74:75], v[40:41], v[48:49]
	v_fma_f64 v[72:73], v[40:41], v[46:47], -v[44:45]
	v_fmac_f64_e32 v[74:75], v[42:43], v[46:47]
	global_load_dwordx4 v[42:45], v[60:61], off offset:64
	v_accvgpr_write_b32 a151, v49
	v_fmac_f64_e32 v[70:71], v[50:51], v[54:55]
	v_accvgpr_write_b32 a150, v48
	v_accvgpr_write_b32 a149, v47
	;; [unrolled: 1-line block ×11, first 2 shown]
	s_waitcnt vmcnt(0) lgkmcnt(6)
	v_mul_f64 v[40:41], v[38:39], v[44:45]
	v_fma_f64 v[60:61], v[36:37], v[42:43], -v[40:41]
	v_mul_f64 v[62:63], v[36:37], v[44:45]
	v_mul_u32_u24_sdwa v36, v98, s9 dst_sel:DWORD dst_unused:UNUSED_PAD src0_sel:WORD_0 src1_sel:DWORD
	v_lshrrev_b32_e32 v147, 18, v36
	v_mul_lo_u16_e32 v36, 6, v147
	v_sub_u16_e32 v149, v98, v36
	v_mul_lo_u16_e32 v36, 0x50, v149
	v_mov_b32_e32 v37, v251
	v_accvgpr_write_b32 a143, v45
	v_lshl_add_u64 v[36:37], s[6:7], 0, v[36:37]
	v_fmac_f64_e32 v[62:63], v[38:39], v[42:43]
	v_accvgpr_write_b32 a142, v44
	v_accvgpr_write_b32 a141, v43
	;; [unrolled: 1-line block ×3, first 2 shown]
	global_load_dwordx4 v[40:43], v[36:37], off offset:48
	global_load_dwordx4 v[44:47], v[36:37], off offset:32
	;; [unrolled: 1-line block ×3, first 2 shown]
	global_load_dwordx4 v[52:55], v[36:37], off
	s_waitcnt vmcnt(3) lgkmcnt(1)
	v_mul_f64 v[94:95], v[20:21], v[42:43]
	s_waitcnt vmcnt(2)
	v_mul_f64 v[78:79], v[24:25], v[46:47]
	s_waitcnt vmcnt(1)
	;; [unrolled: 2-line block ×3, first 2 shown]
	v_mul_f64 v[38:39], v[34:35], v[54:55]
	v_fma_f64 v[86:87], v[32:33], v[52:53], -v[38:39]
	v_mul_f64 v[88:89], v[32:33], v[54:55]
	v_mul_f64 v[32:33], v[30:31], v[50:51]
	v_fma_f64 v[84:85], v[28:29], v[48:49], -v[32:33]
	v_mul_f64 v[28:29], v[26:27], v[46:47]
	v_fma_f64 v[76:77], v[24:25], v[44:45], -v[28:29]
	;; [unrolled: 2-line block ×3, first 2 shown]
	v_fmac_f64_e32 v[94:95], v[22:23], v[40:41]
	global_load_dwordx4 v[22:25], v[36:37], off offset:64
	v_fmac_f64_e32 v[90:91], v[30:31], v[48:49]
	v_fmac_f64_e32 v[88:89], v[34:35], v[52:53]
	;; [unrolled: 1-line block ×3, first 2 shown]
	v_accvgpr_write_b32 a163, v47
	v_accvgpr_write_b32 a159, v43
	;; [unrolled: 1-line block ×16, first 2 shown]
	s_waitcnt lgkmcnt(0)
	s_barrier
	scratch_store_dword off, v97, off offset:128 ; 4-byte Folded Spill
	s_waitcnt vmcnt(1)
	v_mul_f64 v[20:21], v[18:19], v[24:25]
	v_fma_f64 v[80:81], v[16:17], v[22:23], -v[20:21]
	v_mul_f64 v[82:83], v[16:17], v[24:25]
	v_add_f64 v[16:17], v[12:13], v[126:127]
	v_add_f64 v[28:29], v[16:17], v[134:135]
	;; [unrolled: 1-line block ×3, first 2 shown]
	v_fmac_f64_e32 v[12:13], -0.5, v[16:17]
	v_add_f64 v[16:17], v[130:131], -v[138:139]
	v_fma_f64 v[30:31], s[2:3], v[16:17], v[12:13]
	v_fmac_f64_e32 v[12:13], s[4:5], v[16:17]
	v_add_f64 v[16:17], v[14:15], v[130:131]
	v_add_f64 v[34:35], v[16:17], v[138:139]
	;; [unrolled: 1-line block ×3, first 2 shown]
	v_fmac_f64_e32 v[14:15], -0.5, v[16:17]
	v_add_f64 v[16:17], v[126:127], -v[134:135]
	v_fma_f64 v[36:37], s[4:5], v[16:17], v[14:15]
	v_fmac_f64_e32 v[14:15], s[2:3], v[16:17]
	v_add_f64 v[16:17], v[108:109], v[114:115]
	v_add_f64 v[32:33], v[16:17], v[122:123]
	;; [unrolled: 1-line block ×3, first 2 shown]
	v_fmac_f64_e32 v[108:109], -0.5, v[16:17]
	v_add_f64 v[16:17], v[118:119], -v[124:125]
	v_fmac_f64_e32 v[82:83], v[18:19], v[22:23]
	v_fma_f64 v[18:19], s[2:3], v[16:17], v[108:109]
	v_fmac_f64_e32 v[108:109], s[4:5], v[16:17]
	v_add_f64 v[16:17], v[112:113], v[118:119]
	v_add_f64 v[38:39], v[16:17], v[124:125]
	;; [unrolled: 1-line block ×3, first 2 shown]
	v_fmac_f64_e32 v[112:113], -0.5, v[16:17]
	v_add_f64 v[16:17], v[114:115], -v[122:123]
	v_fma_f64 v[26:27], s[4:5], v[16:17], v[112:113]
	v_mul_f64 v[40:41], v[26:27], s[2:3]
	v_mul_f64 v[44:45], v[18:19], s[4:5]
	v_fmac_f64_e32 v[40:41], 0.5, v[18:19]
	v_fmac_f64_e32 v[44:45], 0.5, v[26:27]
	v_fmac_f64_e32 v[112:113], s[2:3], v[16:17]
	v_add_f64 v[20:21], v[28:29], v[32:33]
	v_add_f64 v[16:17], v[30:31], v[40:41]
	;; [unrolled: 1-line block ×3, first 2 shown]
	v_add_f64 v[32:33], v[28:29], -v[32:33]
	v_add_f64 v[28:29], v[30:31], -v[40:41]
	;; [unrolled: 1-line block ×3, first 2 shown]
	v_add_f64 v[36:37], v[8:9], v[128:129]
	v_add_f64 v[48:49], v[36:37], v[136:137]
	;; [unrolled: 1-line block ×3, first 2 shown]
	v_fmac_f64_e32 v[8:9], -0.5, v[36:37]
	v_add_f64 v[36:37], v[132:133], -v[140:141]
	v_fma_f64 v[50:51], s[2:3], v[36:37], v[8:9]
	v_fmac_f64_e32 v[8:9], s[4:5], v[36:37]
	v_add_f64 v[36:37], v[10:11], v[132:133]
	v_add_f64 v[54:55], v[36:37], v[140:141]
	;; [unrolled: 1-line block ×3, first 2 shown]
	v_mul_f64 v[46:47], v[112:113], -0.5
	v_fmac_f64_e32 v[10:11], -0.5, v[36:37]
	v_add_f64 v[36:37], v[128:129], -v[136:137]
	v_mul_f64 v[42:43], v[108:109], -0.5
	v_fmac_f64_e32 v[46:47], s[4:5], v[108:109]
	v_fma_f64 v[108:109], s[4:5], v[36:37], v[10:11]
	v_fmac_f64_e32 v[10:11], s[2:3], v[36:37]
	v_add_f64 v[36:37], v[106:107], v[116:117]
	v_add_f64 v[52:53], v[36:37], v[142:143]
	;; [unrolled: 1-line block ×3, first 2 shown]
	v_accvgpr_write_b32 a147, v25
	v_fmac_f64_e32 v[106:107], -0.5, v[36:37]
	v_add_f64 v[36:37], v[120:121], -v[144:145]
	v_accvgpr_write_b32 a146, v24
	v_accvgpr_write_b32 a145, v23
	v_accvgpr_write_b32 a144, v22
	v_add_f64 v[22:23], v[34:35], v[38:39]
	v_add_f64 v[34:35], v[34:35], -v[38:39]
	v_fma_f64 v[38:39], s[2:3], v[36:37], v[106:107]
	v_fmac_f64_e32 v[106:107], s[4:5], v[36:37]
	v_add_f64 v[36:37], v[110:111], v[120:121]
	v_fmac_f64_e32 v[42:43], s[2:3], v[112:113]
	v_add_f64 v[112:113], v[36:37], v[144:145]
	v_add_f64 v[36:37], v[120:121], v[144:145]
	v_fmac_f64_e32 v[110:111], -0.5, v[36:37]
	v_add_f64 v[36:37], v[116:117], -v[142:143]
	v_add_f64 v[26:27], v[14:15], v[46:47]
	v_add_f64 v[14:15], v[14:15], -v[46:47]
	v_fma_f64 v[46:47], s[4:5], v[36:37], v[110:111]
	v_mul_f64 v[114:115], v[46:47], s[2:3]
	v_mul_f64 v[118:119], v[38:39], s[4:5]
	v_fmac_f64_e32 v[110:111], s[2:3], v[36:37]
	v_fmac_f64_e32 v[114:115], 0.5, v[38:39]
	v_mul_f64 v[116:117], v[106:107], -0.5
	v_fmac_f64_e32 v[118:119], 0.5, v[46:47]
	v_add_f64 v[40:41], v[48:49], v[52:53]
	v_add_f64 v[36:37], v[50:51], v[114:115]
	v_fmac_f64_e32 v[116:117], s[2:3], v[110:111]
	v_add_f64 v[38:39], v[108:109], v[118:119]
	v_mul_f64 v[110:111], v[110:111], -0.5
	v_add_f64 v[52:53], v[48:49], -v[52:53]
	v_add_f64 v[48:49], v[50:51], -v[114:115]
	;; [unrolled: 1-line block ×3, first 2 shown]
	v_add_f64 v[108:109], v[64:65], v[72:73]
	v_fmac_f64_e32 v[110:111], s[4:5], v[106:107]
	v_add_f64 v[106:107], v[4:5], v[64:65]
	v_fmac_f64_e32 v[4:5], -0.5, v[108:109]
	v_add_f64 v[108:109], v[70:71], -v[74:75]
	v_add_f64 v[46:47], v[10:11], v[110:111]
	v_add_f64 v[10:11], v[10:11], -v[110:111]
	v_fma_f64 v[110:111], s[2:3], v[108:109], v[4:5]
	v_fmac_f64_e32 v[4:5], s[4:5], v[108:109]
	v_add_f64 v[108:109], v[6:7], v[70:71]
	v_add_f64 v[70:71], v[70:71], v[74:75]
	v_fmac_f64_e32 v[6:7], -0.5, v[70:71]
	v_add_f64 v[64:65], v[64:65], -v[72:73]
	v_fma_f64 v[70:71], s[4:5], v[64:65], v[6:7]
	v_fmac_f64_e32 v[6:7], s[2:3], v[64:65]
	v_add_f64 v[64:65], v[66:67], v[56:57]
	v_add_f64 v[106:107], v[106:107], v[72:73]
	;; [unrolled: 1-line block ×4, first 2 shown]
	v_fmac_f64_e32 v[66:67], -0.5, v[64:65]
	v_add_f64 v[64:65], v[58:59], -v[62:63]
	v_add_f64 v[108:109], v[108:109], v[74:75]
	v_fma_f64 v[74:75], s[2:3], v[64:65], v[66:67]
	v_fmac_f64_e32 v[66:67], s[4:5], v[64:65]
	v_add_f64 v[64:65], v[68:69], v[58:59]
	v_add_f64 v[58:59], v[58:59], v[62:63]
	v_fmac_f64_e32 v[68:69], -0.5, v[58:59]
	v_add_f64 v[56:57], v[56:57], -v[60:61]
	v_fma_f64 v[58:59], s[4:5], v[56:57], v[68:69]
	v_add_f64 v[24:25], v[12:13], v[42:43]
	v_add_f64 v[12:13], v[12:13], -v[42:43]
	v_add_f64 v[42:43], v[54:55], v[112:113]
	v_add_f64 v[54:55], v[54:55], -v[112:113]
	v_add_f64 v[112:113], v[64:65], v[62:63]
	v_mul_f64 v[114:115], v[58:59], s[2:3]
	v_fmac_f64_e32 v[114:115], 0.5, v[74:75]
	v_add_f64 v[62:63], v[108:109], v[112:113]
	v_mul_f64 v[118:119], v[74:75], s[4:5]
	v_add_f64 v[74:75], v[108:109], -v[112:113]
	v_add_f64 v[108:109], v[84:85], v[92:93]
	v_add_f64 v[44:45], v[8:9], v[116:117]
	v_add_f64 v[8:9], v[8:9], -v[116:117]
	v_fmac_f64_e32 v[68:69], s[2:3], v[56:57]
	v_add_f64 v[60:61], v[106:107], v[72:73]
	v_mul_f64 v[116:117], v[66:67], -0.5
	v_add_f64 v[72:73], v[106:107], -v[72:73]
	v_add_f64 v[106:107], v[0:1], v[84:85]
	v_fmac_f64_e32 v[0:1], -0.5, v[108:109]
	v_add_f64 v[108:109], v[90:91], -v[94:95]
	v_add_f64 v[56:57], v[110:111], v[114:115]
	v_fmac_f64_e32 v[116:117], s[2:3], v[68:69]
	v_mul_f64 v[120:121], v[68:69], -0.5
	v_add_f64 v[68:69], v[110:111], -v[114:115]
	v_fma_f64 v[110:111], s[2:3], v[108:109], v[0:1]
	v_fmac_f64_e32 v[0:1], s[4:5], v[108:109]
	v_add_f64 v[108:109], v[2:3], v[90:91]
	v_add_f64 v[90:91], v[90:91], v[94:95]
	v_fmac_f64_e32 v[2:3], -0.5, v[90:91]
	v_add_f64 v[84:85], v[84:85], -v[92:93]
	v_fma_f64 v[90:91], s[4:5], v[84:85], v[2:3]
	v_fmac_f64_e32 v[2:3], s[2:3], v[84:85]
	v_add_f64 v[84:85], v[86:87], v[76:77]
	v_add_f64 v[106:107], v[106:107], v[92:93]
	;; [unrolled: 1-line block ×4, first 2 shown]
	v_fmac_f64_e32 v[86:87], -0.5, v[84:85]
	v_add_f64 v[84:85], v[78:79], -v[82:83]
	ds_write_b128 v97, v[20:23]
	ds_write_b128 v97, v[16:19] offset:96
	ds_write_b128 v97, v[24:27] offset:192
	;; [unrolled: 1-line block ×5, first 2 shown]
	v_mov_b32_e32 v97, 57
	v_add_f64 v[108:109], v[108:109], v[94:95]
	v_fma_f64 v[94:95], s[2:3], v[84:85], v[86:87]
	v_fmac_f64_e32 v[86:87], s[4:5], v[84:85]
	v_add_f64 v[84:85], v[88:89], v[78:79]
	v_add_f64 v[78:79], v[78:79], v[82:83]
	v_mad_legacy_u16 v12, v100, 36, v101
	v_mul_lo_u16_sdwa v97, v146, v97 dst_sel:DWORD dst_unused:UNUSED_PAD src0_sel:BYTE_0 src1_sel:DWORD
	v_fmac_f64_e32 v[88:89], -0.5, v[78:79]
	v_add_f64 v[76:77], v[76:77], -v[80:81]
	v_lshlrev_b32_e32 v12, 4, v12
	v_lshrrev_b16_e32 v97, 11, v97
	v_fmac_f64_e32 v[118:119], 0.5, v[58:59]
	v_fmac_f64_e32 v[120:121], s[4:5], v[66:67]
	v_fma_f64 v[78:79], s[4:5], v[76:77], v[88:89]
	v_fmac_f64_e32 v[88:89], s[2:3], v[76:77]
	scratch_store_dword off, v12, off offset:88 ; 4-byte Folded Spill
	ds_write_b128 v12, v[40:43]
	ds_write_b128 v12, v[36:39] offset:96
	ds_write_b128 v12, v[44:47] offset:192
	;; [unrolled: 1-line block ×5, first 2 shown]
	v_mad_legacy_u16 v8, v103, 36, v148
	v_mul_lo_u16_e32 v99, 36, v97
	v_add_f64 v[64:65], v[4:5], v[116:117]
	v_add_f64 v[58:59], v[70:71], v[118:119]
	;; [unrolled: 1-line block ×3, first 2 shown]
	v_add_f64 v[4:5], v[4:5], -v[116:117]
	v_add_f64 v[70:71], v[70:71], -v[118:119]
	;; [unrolled: 1-line block ×3, first 2 shown]
	v_mul_f64 v[114:115], v[78:79], s[2:3]
	v_mul_f64 v[116:117], v[86:87], -0.5
	v_mul_f64 v[118:119], v[94:95], s[4:5]
	v_mul_f64 v[120:121], v[88:89], -0.5
	v_lshlrev_b32_e32 v8, 4, v8
	v_sub_u16_e32 v99, v146, v99
	v_add_f64 v[112:113], v[84:85], v[82:83]
	v_fmac_f64_e32 v[114:115], 0.5, v[94:95]
	v_fmac_f64_e32 v[116:117], s[2:3], v[88:89]
	v_fmac_f64_e32 v[118:119], 0.5, v[78:79]
	v_fmac_f64_e32 v[120:121], s[4:5], v[86:87]
	scratch_store_dword off, v8, off offset:68 ; 4-byte Folded Spill
	ds_write_b128 v8, v[60:63]
	ds_write_b128 v8, v[56:59] offset:96
	ds_write_b128 v8, v[64:67] offset:192
	;; [unrolled: 1-line block ×5, first 2 shown]
	v_mad_legacy_u16 v4, v147, 36, v149
	v_and_b32_e32 v99, 0xff, v99
	v_add_f64 v[80:81], v[106:107], v[92:93]
	v_add_f64 v[76:77], v[110:111], v[114:115]
	;; [unrolled: 1-line block ×6, first 2 shown]
	v_add_f64 v[92:93], v[106:107], -v[92:93]
	v_add_f64 v[88:89], v[110:111], -v[114:115]
	v_add_f64 v[0:1], v[0:1], -v[116:117]
	v_add_f64 v[94:95], v[108:109], -v[112:113]
	v_add_f64 v[90:91], v[90:91], -v[118:119]
	v_add_f64 v[2:3], v[2:3], -v[120:121]
	v_lshlrev_b32_e32 v4, 4, v4
	v_mad_u64_u32 v[100:101], s[8:9], v99, s8, v[104:105]
	scratch_store_dword off, v4, off offset:32 ; 4-byte Folded Spill
	ds_write_b128 v4, v[80:83]
	ds_write_b128 v4, v[76:79] offset:96
	ds_write_b128 v4, v[84:87] offset:192
	;; [unrolled: 1-line block ×5, first 2 shown]
	s_waitcnt lgkmcnt(0)
	s_barrier
	ds_read_b128 v[12:15], v250
	ds_read_b128 v[92:95], v250 offset:9216
	ds_read_b128 v[88:91], v250 offset:18432
	;; [unrolled: 1-line block ×23, first 2 shown]
	global_load_dwordx4 v[106:109], v[100:101], off offset:528
	global_load_dwordx4 v[110:113], v[100:101], off offset:512
	;; [unrolled: 1-line block ×4, first 2 shown]
	s_mov_b32 s8, 0xe38f
	v_mul_u32_u24_e32 v97, 0xd8, v97
	v_add_lshl_u32 v147, v97, v99, 4
	s_waitcnt vmcnt(3) lgkmcnt(14)
	v_mul_f64 v[142:143], v[80:81], v[108:109]
	s_waitcnt vmcnt(2)
	v_mul_f64 v[130:131], v[84:85], v[112:113]
	s_waitcnt vmcnt(1)
	;; [unrolled: 2-line block ×3, first 2 shown]
	v_mul_f64 v[104:105], v[94:95], v[120:121]
	v_fma_f64 v[124:125], v[92:93], v[118:119], -v[104:105]
	v_mul_f64 v[126:127], v[92:93], v[120:121]
	v_mul_f64 v[92:93], v[90:91], v[116:117]
	v_fma_f64 v[136:137], v[88:89], v[114:115], -v[92:93]
	v_mul_f64 v[88:89], v[86:87], v[112:113]
	v_fma_f64 v[128:129], v[84:85], v[110:111], -v[88:89]
	;; [unrolled: 2-line block ×3, first 2 shown]
	v_fmac_f64_e32 v[142:143], v[82:83], v[106:107]
	global_load_dwordx4 v[82:85], v[100:101], off offset:544
	v_fmac_f64_e32 v[126:127], v[94:95], v[118:119]
	v_fmac_f64_e32 v[138:139], v[90:91], v[114:115]
	;; [unrolled: 1-line block ×3, first 2 shown]
	v_accvgpr_write_b32 a189, v109
	v_accvgpr_write_b32 a197, v121
	;; [unrolled: 1-line block ×16, first 2 shown]
	s_waitcnt vmcnt(0)
	v_mul_f64 v[80:81], v[78:79], v[84:85]
	v_fma_f64 v[132:133], v[76:77], v[82:83], -v[80:81]
	v_mul_f64 v[134:135], v[76:77], v[84:85]
	v_mul_u32_u24_sdwa v76, v96, s8 dst_sel:DWORD dst_unused:UNUSED_PAD src0_sel:WORD_0 src1_sel:DWORD
	v_lshrrev_b32_e32 v100, 21, v76
	v_mul_lo_u16_e32 v76, 36, v100
	v_sub_u16_e32 v101, v96, v76
	v_mul_lo_u16_e32 v76, 0x50, v101
	v_mov_b32_e32 v77, v251
	v_accvgpr_write_b32 a185, v85
	v_lshl_add_u64 v[76:77], s[6:7], 0, v[76:77]
	v_fmac_f64_e32 v[134:135], v[78:79], v[82:83]
	v_accvgpr_write_b32 a184, v84
	v_accvgpr_write_b32 a183, v83
	;; [unrolled: 1-line block ×3, first 2 shown]
	global_load_dwordx4 v[80:83], v[76:77], off offset:528
	global_load_dwordx4 v[84:87], v[76:77], off offset:512
	;; [unrolled: 1-line block ×4, first 2 shown]
	s_waitcnt vmcnt(3) lgkmcnt(13)
	v_mul_f64 v[122:123], v[60:61], v[82:83]
	s_waitcnt vmcnt(2)
	v_mul_f64 v[110:111], v[64:65], v[86:87]
	s_waitcnt vmcnt(1)
	;; [unrolled: 2-line block ×3, first 2 shown]
	v_mul_f64 v[78:79], v[74:75], v[94:95]
	v_fma_f64 v[104:105], v[72:73], v[92:93], -v[78:79]
	v_mul_f64 v[106:107], v[72:73], v[94:95]
	v_mul_f64 v[72:73], v[70:71], v[90:91]
	v_fma_f64 v[116:117], v[68:69], v[88:89], -v[72:73]
	v_mul_f64 v[68:69], v[66:67], v[86:87]
	v_fma_f64 v[108:109], v[64:65], v[84:85], -v[68:69]
	;; [unrolled: 2-line block ×3, first 2 shown]
	v_fmac_f64_e32 v[122:123], v[62:63], v[80:81]
	global_load_dwordx4 v[62:65], v[76:77], off offset:544
	v_accvgpr_write_b32 a227, v83
	v_fmac_f64_e32 v[106:107], v[74:75], v[92:93]
	v_accvgpr_write_b32 a226, v82
	v_accvgpr_write_b32 a225, v81
	v_accvgpr_write_b32 a224, v80
	v_fmac_f64_e32 v[110:111], v[66:67], v[84:85]
	v_fmac_f64_e32 v[118:119], v[70:71], v[88:89]
	v_accvgpr_write_b32 a243, v91
	v_accvgpr_write_b32 a255, v87
	;; [unrolled: 1-line block ×12, first 2 shown]
	s_waitcnt vmcnt(0) lgkmcnt(12)
	v_mul_f64 v[60:61], v[58:59], v[64:65]
	v_fma_f64 v[112:113], v[56:57], v[62:63], -v[60:61]
	v_mul_f64 v[114:115], v[56:57], v[64:65]
	v_mul_u32_u24_sdwa v56, v102, s8 dst_sel:DWORD dst_unused:UNUSED_PAD src0_sel:WORD_0 src1_sel:DWORD
	v_lshrrev_b32_e32 v103, 21, v56
	v_mul_lo_u16_e32 v56, 36, v103
	v_sub_u16_e32 v144, v102, v56
	v_mul_lo_u16_e32 v56, 0x50, v144
	v_mov_b32_e32 v57, v251
	v_accvgpr_write_b32 a207, v65
	v_lshl_add_u64 v[60:61], s[6:7], 0, v[56:57]
	v_fmac_f64_e32 v[114:115], v[58:59], v[62:63]
	v_accvgpr_write_b32 a206, v64
	v_accvgpr_write_b32 a205, v63
	;; [unrolled: 1-line block ×3, first 2 shown]
	global_load_dwordx4 v[72:75], v[60:61], off offset:528
	global_load_dwordx4 v[76:79], v[60:61], off offset:512
	;; [unrolled: 1-line block ×4, first 2 shown]
	s_waitcnt vmcnt(2) lgkmcnt(8)
	v_mul_f64 v[58:59], v[44:45], v[78:79]
	v_fmac_f64_e32 v[58:59], v[46:47], v[76:77]
	s_waitcnt vmcnt(0)
	v_mul_f64 v[56:57], v[54:55], v[82:83]
	v_mul_f64 v[68:69], v[52:53], v[82:83]
	v_fma_f64 v[66:67], v[52:53], v[80:81], -v[56:57]
	v_fmac_f64_e32 v[68:69], v[54:55], v[80:81]
	v_mov_b64_e32 v[54:55], v[62:63]
	v_mov_b64_e32 v[56:57], v[64:65]
	v_mul_f64 v[52:53], v[50:51], v[56:57]
	v_fma_f64 v[64:65], v[48:49], v[54:55], -v[52:53]
	v_mul_f64 v[70:71], v[48:49], v[56:57]
	v_accvgpr_write_b32 a239, v57
	v_mul_f64 v[48:49], v[46:47], v[78:79]
	v_accvgpr_write_b32 a238, v56
	v_accvgpr_write_b32 a237, v55
	v_accvgpr_write_b32 a236, v54
	v_fma_f64 v[56:57], v[44:45], v[76:77], -v[48:49]
	v_mov_b64_e32 v[46:47], v[72:73]
	v_mov_b64_e32 v[48:49], v[74:75]
	s_waitcnt lgkmcnt(7)
	v_mul_f64 v[44:45], v[42:43], v[48:49]
	v_mul_f64 v[74:75], v[40:41], v[48:49]
	v_fma_f64 v[72:73], v[40:41], v[46:47], -v[44:45]
	v_fmac_f64_e32 v[74:75], v[42:43], v[46:47]
	global_load_dwordx4 v[42:45], v[60:61], off offset:544
	v_accvgpr_write_b32 a219, v49
	v_fmac_f64_e32 v[70:71], v[50:51], v[54:55]
	v_accvgpr_write_b32 a218, v48
	v_accvgpr_write_b32 a217, v47
	;; [unrolled: 1-line block ×11, first 2 shown]
	s_waitcnt vmcnt(0) lgkmcnt(6)
	v_mul_f64 v[40:41], v[38:39], v[44:45]
	v_fma_f64 v[60:61], v[36:37], v[42:43], -v[40:41]
	v_mul_f64 v[62:63], v[36:37], v[44:45]
	v_mul_u32_u24_sdwa v36, v98, s8 dst_sel:DWORD dst_unused:UNUSED_PAD src0_sel:WORD_0 src1_sel:DWORD
	v_lshrrev_b32_e32 v102, 21, v36
	v_mul_lo_u16_e32 v36, 36, v102
	v_sub_u16_e32 v145, v98, v36
	v_mul_lo_u16_e32 v36, 0x50, v145
	v_mov_b32_e32 v37, v251
	v_accvgpr_write_b32 a211, v45
	v_lshl_add_u64 v[36:37], s[6:7], 0, v[36:37]
	v_fmac_f64_e32 v[62:63], v[38:39], v[42:43]
	v_accvgpr_write_b32 a210, v44
	v_accvgpr_write_b32 a209, v43
	;; [unrolled: 1-line block ×3, first 2 shown]
	global_load_dwordx4 v[40:43], v[36:37], off offset:528
	global_load_dwordx4 v[44:47], v[36:37], off offset:512
	;; [unrolled: 1-line block ×4, first 2 shown]
	s_movk_i32 s8, 0xd8
	s_waitcnt vmcnt(3) lgkmcnt(1)
	v_mul_f64 v[94:95], v[20:21], v[42:43]
	s_waitcnt vmcnt(2)
	v_mul_f64 v[78:79], v[24:25], v[46:47]
	s_waitcnt vmcnt(1)
	;; [unrolled: 2-line block ×3, first 2 shown]
	v_mul_f64 v[38:39], v[34:35], v[54:55]
	v_fma_f64 v[86:87], v[32:33], v[52:53], -v[38:39]
	v_mul_f64 v[88:89], v[32:33], v[54:55]
	v_mul_f64 v[32:33], v[30:31], v[50:51]
	v_fma_f64 v[84:85], v[28:29], v[48:49], -v[32:33]
	v_mul_f64 v[28:29], v[26:27], v[46:47]
	v_fma_f64 v[76:77], v[24:25], v[44:45], -v[28:29]
	v_mul_f64 v[24:25], v[22:23], v[42:43]
	v_fma_f64 v[92:93], v[20:21], v[40:41], -v[24:25]
	v_fmac_f64_e32 v[94:95], v[22:23], v[40:41]
	global_load_dwordx4 v[22:25], v[36:37], off offset:544
	v_fmac_f64_e32 v[90:91], v[30:31], v[48:49]
	v_fmac_f64_e32 v[88:89], v[34:35], v[52:53]
	;; [unrolled: 1-line block ×3, first 2 shown]
	v_accvgpr_write_b32 a235, v47
	v_accvgpr_write_b32 a231, v43
	;; [unrolled: 1-line block ×16, first 2 shown]
	s_waitcnt lgkmcnt(0)
	s_barrier
	s_waitcnt vmcnt(0)
	v_mul_f64 v[20:21], v[18:19], v[24:25]
	v_fma_f64 v[80:81], v[16:17], v[22:23], -v[20:21]
	v_mul_f64 v[82:83], v[16:17], v[24:25]
	v_add_f64 v[16:17], v[12:13], v[136:137]
	v_add_f64 v[28:29], v[16:17], v[140:141]
	;; [unrolled: 1-line block ×3, first 2 shown]
	v_fmac_f64_e32 v[12:13], -0.5, v[16:17]
	v_add_f64 v[16:17], v[138:139], -v[142:143]
	v_fma_f64 v[30:31], s[2:3], v[16:17], v[12:13]
	v_fmac_f64_e32 v[12:13], s[4:5], v[16:17]
	v_add_f64 v[16:17], v[14:15], v[138:139]
	v_add_f64 v[34:35], v[16:17], v[142:143]
	;; [unrolled: 1-line block ×3, first 2 shown]
	v_fmac_f64_e32 v[14:15], -0.5, v[16:17]
	v_add_f64 v[16:17], v[136:137], -v[140:141]
	v_fma_f64 v[36:37], s[4:5], v[16:17], v[14:15]
	v_fmac_f64_e32 v[14:15], s[2:3], v[16:17]
	v_add_f64 v[16:17], v[124:125], v[128:129]
	v_add_f64 v[32:33], v[16:17], v[132:133]
	;; [unrolled: 1-line block ×3, first 2 shown]
	v_fmac_f64_e32 v[124:125], -0.5, v[16:17]
	v_add_f64 v[16:17], v[130:131], -v[134:135]
	v_fmac_f64_e32 v[82:83], v[18:19], v[22:23]
	v_fma_f64 v[18:19], s[2:3], v[16:17], v[124:125]
	v_fmac_f64_e32 v[124:125], s[4:5], v[16:17]
	v_add_f64 v[16:17], v[126:127], v[130:131]
	v_add_f64 v[38:39], v[16:17], v[134:135]
	;; [unrolled: 1-line block ×3, first 2 shown]
	v_fmac_f64_e32 v[126:127], -0.5, v[16:17]
	v_add_f64 v[16:17], v[128:129], -v[132:133]
	v_fma_f64 v[26:27], s[4:5], v[16:17], v[126:127]
	v_mul_f64 v[40:41], v[26:27], s[2:3]
	v_mul_f64 v[44:45], v[18:19], s[4:5]
	v_fmac_f64_e32 v[40:41], 0.5, v[18:19]
	v_fmac_f64_e32 v[44:45], 0.5, v[26:27]
	v_fmac_f64_e32 v[126:127], s[2:3], v[16:17]
	v_add_f64 v[20:21], v[28:29], v[32:33]
	v_add_f64 v[16:17], v[30:31], v[40:41]
	;; [unrolled: 1-line block ×3, first 2 shown]
	v_add_f64 v[32:33], v[28:29], -v[32:33]
	v_add_f64 v[28:29], v[30:31], -v[40:41]
	;; [unrolled: 1-line block ×3, first 2 shown]
	v_add_f64 v[36:37], v[8:9], v[116:117]
	v_add_f64 v[48:49], v[36:37], v[120:121]
	;; [unrolled: 1-line block ×3, first 2 shown]
	v_fmac_f64_e32 v[8:9], -0.5, v[36:37]
	v_add_f64 v[36:37], v[118:119], -v[122:123]
	v_fma_f64 v[50:51], s[2:3], v[36:37], v[8:9]
	v_fmac_f64_e32 v[8:9], s[4:5], v[36:37]
	v_add_f64 v[36:37], v[10:11], v[118:119]
	v_add_f64 v[54:55], v[36:37], v[122:123]
	;; [unrolled: 1-line block ×3, first 2 shown]
	v_fmac_f64_e32 v[10:11], -0.5, v[36:37]
	v_add_f64 v[36:37], v[116:117], -v[120:121]
	v_fma_f64 v[116:117], s[4:5], v[36:37], v[10:11]
	v_fmac_f64_e32 v[10:11], s[2:3], v[36:37]
	v_add_f64 v[36:37], v[104:105], v[108:109]
	v_add_f64 v[52:53], v[36:37], v[112:113]
	;; [unrolled: 1-line block ×3, first 2 shown]
	v_accvgpr_write_b32 a215, v25
	v_fmac_f64_e32 v[104:105], -0.5, v[36:37]
	v_add_f64 v[36:37], v[110:111], -v[114:115]
	v_accvgpr_write_b32 a214, v24
	v_accvgpr_write_b32 a213, v23
	;; [unrolled: 1-line block ×3, first 2 shown]
	v_add_f64 v[22:23], v[34:35], v[38:39]
	v_add_f64 v[34:35], v[34:35], -v[38:39]
	v_fma_f64 v[38:39], s[2:3], v[36:37], v[104:105]
	v_fmac_f64_e32 v[104:105], s[4:5], v[36:37]
	v_add_f64 v[36:37], v[106:107], v[110:111]
	v_mul_f64 v[46:47], v[126:127], -0.5
	v_add_f64 v[118:119], v[36:37], v[114:115]
	v_add_f64 v[36:37], v[110:111], v[114:115]
	v_fmac_f64_e32 v[46:47], s[4:5], v[124:125]
	v_fmac_f64_e32 v[106:107], -0.5, v[36:37]
	v_add_f64 v[36:37], v[108:109], -v[112:113]
	v_add_f64 v[26:27], v[14:15], v[46:47]
	v_add_f64 v[14:15], v[14:15], -v[46:47]
	v_fma_f64 v[46:47], s[4:5], v[36:37], v[106:107]
	v_fmac_f64_e32 v[106:107], s[2:3], v[36:37]
	v_mul_f64 v[110:111], v[104:105], -0.5
	v_fmac_f64_e32 v[110:111], s[2:3], v[106:107]
	v_mul_f64 v[106:107], v[106:107], -0.5
	v_mul_f64 v[112:113], v[38:39], s[4:5]
	v_fmac_f64_e32 v[106:107], s[4:5], v[104:105]
	v_mul_f64 v[108:109], v[46:47], s[2:3]
	v_fmac_f64_e32 v[112:113], 0.5, v[46:47]
	v_add_f64 v[46:47], v[10:11], v[106:107]
	v_add_f64 v[10:11], v[10:11], -v[106:107]
	v_add_f64 v[106:107], v[64:65], v[72:73]
	v_fmac_f64_e32 v[108:109], 0.5, v[38:39]
	v_add_f64 v[104:105], v[4:5], v[64:65]
	v_fmac_f64_e32 v[4:5], -0.5, v[106:107]
	v_add_f64 v[106:107], v[70:71], -v[74:75]
	v_add_f64 v[40:41], v[48:49], v[52:53]
	v_add_f64 v[36:37], v[50:51], v[108:109]
	v_add_f64 v[52:53], v[48:49], -v[52:53]
	v_add_f64 v[48:49], v[50:51], -v[108:109]
	v_fma_f64 v[108:109], s[2:3], v[106:107], v[4:5]
	v_fmac_f64_e32 v[4:5], s[4:5], v[106:107]
	v_add_f64 v[106:107], v[6:7], v[70:71]
	v_add_f64 v[70:71], v[70:71], v[74:75]
	v_fmac_f64_e32 v[6:7], -0.5, v[70:71]
	v_add_f64 v[64:65], v[64:65], -v[72:73]
	v_fma_f64 v[70:71], s[4:5], v[64:65], v[6:7]
	v_fmac_f64_e32 v[6:7], s[2:3], v[64:65]
	v_add_f64 v[64:65], v[66:67], v[56:57]
	v_add_f64 v[104:105], v[104:105], v[72:73]
	;; [unrolled: 1-line block ×4, first 2 shown]
	v_fmac_f64_e32 v[66:67], -0.5, v[64:65]
	v_add_f64 v[64:65], v[58:59], -v[62:63]
	v_add_f64 v[106:107], v[106:107], v[74:75]
	v_fma_f64 v[74:75], s[2:3], v[64:65], v[66:67]
	v_fmac_f64_e32 v[66:67], s[4:5], v[64:65]
	v_add_f64 v[64:65], v[68:69], v[58:59]
	v_add_f64 v[58:59], v[58:59], v[62:63]
	v_fmac_f64_e32 v[68:69], -0.5, v[58:59]
	v_add_f64 v[56:57], v[56:57], -v[60:61]
	v_fma_f64 v[58:59], s[4:5], v[56:57], v[68:69]
	v_add_f64 v[44:45], v[8:9], v[110:111]
	v_add_f64 v[38:39], v[116:117], v[112:113]
	v_add_f64 v[8:9], v[8:9], -v[110:111]
	v_add_f64 v[50:51], v[116:117], -v[112:113]
	v_add_f64 v[110:111], v[64:65], v[62:63]
	v_mul_f64 v[112:113], v[58:59], s[2:3]
	v_mul_f64 v[42:43], v[124:125], -0.5
	v_fmac_f64_e32 v[112:113], 0.5, v[74:75]
	v_add_f64 v[62:63], v[106:107], v[110:111]
	v_mul_f64 v[116:117], v[74:75], s[4:5]
	v_add_f64 v[74:75], v[106:107], -v[110:111]
	v_add_f64 v[106:107], v[84:85], v[92:93]
	v_fmac_f64_e32 v[42:43], s[2:3], v[126:127]
	v_fmac_f64_e32 v[68:69], s[2:3], v[56:57]
	v_add_f64 v[60:61], v[104:105], v[72:73]
	v_mul_f64 v[114:115], v[66:67], -0.5
	v_add_f64 v[72:73], v[104:105], -v[72:73]
	v_add_f64 v[104:105], v[0:1], v[84:85]
	v_fmac_f64_e32 v[0:1], -0.5, v[106:107]
	v_add_f64 v[106:107], v[90:91], -v[94:95]
	v_add_f64 v[24:25], v[12:13], v[42:43]
	v_add_f64 v[12:13], v[12:13], -v[42:43]
	v_add_f64 v[42:43], v[54:55], v[118:119]
	v_add_f64 v[54:55], v[54:55], -v[118:119]
	v_add_f64 v[56:57], v[108:109], v[112:113]
	v_fmac_f64_e32 v[114:115], s[2:3], v[68:69]
	v_mul_f64 v[118:119], v[68:69], -0.5
	v_add_f64 v[68:69], v[108:109], -v[112:113]
	v_fma_f64 v[108:109], s[2:3], v[106:107], v[0:1]
	v_fmac_f64_e32 v[0:1], s[4:5], v[106:107]
	v_add_f64 v[106:107], v[2:3], v[90:91]
	v_add_f64 v[90:91], v[90:91], v[94:95]
	v_fmac_f64_e32 v[2:3], -0.5, v[90:91]
	v_add_f64 v[84:85], v[84:85], -v[92:93]
	v_fma_f64 v[90:91], s[4:5], v[84:85], v[2:3]
	v_fmac_f64_e32 v[2:3], s[2:3], v[84:85]
	v_add_f64 v[84:85], v[86:87], v[76:77]
	v_add_f64 v[104:105], v[104:105], v[92:93]
	;; [unrolled: 1-line block ×4, first 2 shown]
	v_fmac_f64_e32 v[86:87], -0.5, v[84:85]
	v_add_f64 v[84:85], v[78:79], -v[82:83]
	v_add_f64 v[106:107], v[106:107], v[94:95]
	v_fma_f64 v[94:95], s[2:3], v[84:85], v[86:87]
	v_fmac_f64_e32 v[86:87], s[4:5], v[84:85]
	v_add_f64 v[84:85], v[88:89], v[78:79]
	v_add_f64 v[78:79], v[78:79], v[82:83]
	ds_write_b128 v147, v[20:23]
	ds_write_b128 v147, v[16:19] offset:576
	ds_write_b128 v147, v[24:27] offset:1152
	ds_write_b128 v147, v[32:35] offset:1728
	ds_write_b128 v147, v[28:31] offset:2304
	ds_write_b128 v147, v[12:15] offset:2880
	v_mad_legacy_u16 v12, v100, s8, v101
	v_fmac_f64_e32 v[88:89], -0.5, v[78:79]
	v_add_f64 v[76:77], v[76:77], -v[80:81]
	v_lshlrev_b32_e32 v12, 4, v12
	v_fmac_f64_e32 v[116:117], 0.5, v[58:59]
	v_fmac_f64_e32 v[118:119], s[4:5], v[66:67]
	v_fma_f64 v[78:79], s[4:5], v[76:77], v[88:89]
	v_fmac_f64_e32 v[88:89], s[2:3], v[76:77]
	ds_write_b128 v12, v[40:43]
	ds_write_b128 v12, v[36:39] offset:576
	ds_write_b128 v12, v[44:47] offset:1152
	;; [unrolled: 1-line block ×5, first 2 shown]
	v_mad_legacy_u16 v8, v103, s8, v144
	v_add_f64 v[64:65], v[4:5], v[114:115]
	v_add_f64 v[58:59], v[70:71], v[116:117]
	;; [unrolled: 1-line block ×3, first 2 shown]
	v_add_f64 v[4:5], v[4:5], -v[114:115]
	v_add_f64 v[70:71], v[70:71], -v[116:117]
	;; [unrolled: 1-line block ×3, first 2 shown]
	v_mul_f64 v[112:113], v[78:79], s[2:3]
	v_mul_f64 v[114:115], v[86:87], -0.5
	v_mul_f64 v[116:117], v[94:95], s[4:5]
	v_mul_f64 v[118:119], v[88:89], -0.5
	v_lshlrev_b32_e32 v8, 4, v8
	v_add_f64 v[110:111], v[84:85], v[82:83]
	v_fmac_f64_e32 v[112:113], 0.5, v[94:95]
	v_fmac_f64_e32 v[114:115], s[2:3], v[88:89]
	v_fmac_f64_e32 v[116:117], 0.5, v[78:79]
	v_fmac_f64_e32 v[118:119], s[4:5], v[86:87]
	ds_write_b128 v8, v[60:63]
	ds_write_b128 v8, v[56:59] offset:576
	ds_write_b128 v8, v[64:67] offset:1152
	;; [unrolled: 1-line block ×5, first 2 shown]
	v_mad_legacy_u16 v4, v102, s8, v145
	v_add_f64 v[80:81], v[104:105], v[92:93]
	v_add_f64 v[76:77], v[108:109], v[112:113]
	v_add_f64 v[84:85], v[0:1], v[114:115]
	v_add_f64 v[82:83], v[106:107], v[110:111]
	v_add_f64 v[78:79], v[90:91], v[116:117]
	v_add_f64 v[86:87], v[2:3], v[118:119]
	v_add_f64 v[92:93], v[104:105], -v[92:93]
	v_add_f64 v[88:89], v[108:109], -v[112:113]
	;; [unrolled: 1-line block ×6, first 2 shown]
	v_lshlrev_b32_e32 v4, 4, v4
	v_mad_u64_u32 v[102:103], s[8:9], v146, 48, s[6:7]
	v_accvgpr_write_b32 a180, v12
	v_accvgpr_write_b32 a181, v8
	scratch_store_dword off, v4, off offset:124 ; 4-byte Folded Spill
	ds_write_b128 v4, v[80:83]
	ds_write_b128 v4, v[76:79] offset:576
	ds_write_b128 v4, v[84:87] offset:1152
	;; [unrolled: 1-line block ×5, first 2 shown]
	s_waitcnt lgkmcnt(0)
	s_barrier
	ds_read_b128 v[20:23], v250
	ds_read_b128 v[92:95], v250 offset:13824
	ds_read_b128 v[88:91], v250 offset:27648
	;; [unrolled: 1-line block ×23, first 2 shown]
	global_load_dwordx4 v[106:109], v[102:103], off offset:3392
	global_load_dwordx4 v[110:113], v[102:103], off offset:3376
	;; [unrolled: 1-line block ×3, first 2 shown]
	s_movk_i32 s8, 0x48
	v_cmp_gt_u16_e32 vcc, s8, v146
	s_mov_b64 s[8:9], 0x1aa0
	s_waitcnt vmcnt(2)
	v_accvgpr_write_b32 a16, v106
	s_waitcnt vmcnt(1)
	v_accvgpr_write_b32 a8, v110
	s_waitcnt vmcnt(0) lgkmcnt(14)
	v_mul_f64 v[100:101], v[94:95], v[116:117]
	v_fma_f64 v[104:105], v[92:93], v[114:115], -v[100:101]
	v_mul_f64 v[92:93], v[92:93], v[116:117]
	v_fmac_f64_e32 v[92:93], v[94:95], v[114:115]
	v_mul_f64 v[94:95], v[90:91], v[112:113]
	v_fma_f64 v[94:95], v[88:89], v[110:111], -v[94:95]
	v_mul_f64 v[88:89], v[88:89], v[112:113]
	v_fmac_f64_e32 v[88:89], v[90:91], v[110:111]
	;; [unrolled: 4-line block ×3, first 2 shown]
	v_add_u32_e32 v86, 0xffffffb8, v146
	v_cndmask_b32_e32 v97, v86, v96, vcc
	v_mul_hi_i32_i24_e32 v87, 48, v97
	v_mul_i32_i24_e32 v86, 48, v97
	v_accvgpr_write_b32 a12, v114
	v_lshl_add_u64 v[86:87], s[6:7], 0, v[86:87]
	v_accvgpr_write_b32 a13, v115
	v_accvgpr_write_b32 a14, v116
	;; [unrolled: 1-line block ×6, first 2 shown]
	global_load_dwordx4 v[110:113], v[86:87], off offset:3392
	global_load_dwordx4 v[114:117], v[86:87], off offset:3376
	;; [unrolled: 1-line block ×3, first 2 shown]
	v_accvgpr_write_b32 a17, v107
	v_accvgpr_write_b32 a18, v108
	;; [unrolled: 1-line block ×3, first 2 shown]
	s_waitcnt vmcnt(2)
	v_accvgpr_write_b32 a0, v110
	s_waitcnt vmcnt(1)
	v_accvgpr_write_b32 a4, v114
	s_waitcnt vmcnt(0)
	v_mul_f64 v[86:87], v[82:83], v[248:249]
	v_fma_f64 v[100:101], v[80:81], v[246:247], -v[86:87]
	v_mul_f64 v[106:107], v[80:81], v[248:249]
	v_mul_f64 v[80:81], v[78:79], v[116:117]
	v_fma_f64 v[108:109], v[76:77], v[114:115], -v[80:81]
	v_mul_f64 v[76:77], v[76:77], v[116:117]
	v_fmac_f64_e32 v[76:77], v[78:79], v[114:115]
	v_mul_f64 v[78:79], v[74:75], v[112:113]
	v_add_co_u32_e32 v80, vcc, s17, v102
	v_fma_f64 v[78:79], v[72:73], v[110:111], -v[78:79]
	v_mul_f64 v[72:73], v[72:73], v[112:113]
	v_addc_co_u32_e32 v81, vcc, 0, v103, vcc
	v_fmac_f64_e32 v[72:73], v[74:75], v[110:111]
	v_lshl_add_u64 v[74:75], v[102:103], 0, s[8:9]
	global_load_dwordx4 v[232:235], v[80:81], off offset:2720
	global_load_dwordx4 v[240:243], v[74:75], off offset:32
	;; [unrolled: 1-line block ×3, first 2 shown]
	v_accvgpr_write_b32 a1, v111
	v_accvgpr_write_b32 a2, v112
	;; [unrolled: 1-line block ×6, first 2 shown]
	v_fmac_f64_e32 v[106:107], v[82:83], v[246:247]
	s_movk_i32 s8, 0x47
	v_cmp_lt_u16_e32 vcc, s8, v146
	s_movk_i32 s8, 0x360
	s_waitcnt vmcnt(2)
	v_mul_f64 v[74:75], v[70:71], v[234:235]
	v_fma_f64 v[110:111], v[68:69], v[232:233], -v[74:75]
	v_mul_f64 v[112:113], v[68:69], v[234:235]
	s_waitcnt vmcnt(0) lgkmcnt(13)
	v_mul_f64 v[68:69], v[66:67], v[238:239]
	v_fma_f64 v[114:115], v[64:65], v[236:237], -v[68:69]
	v_mul_f64 v[116:117], v[64:65], v[238:239]
	s_waitcnt lgkmcnt(12)
	v_mul_f64 v[64:65], v[62:63], v[242:243]
	v_fma_f64 v[118:119], v[60:61], v[240:241], -v[64:65]
	v_mul_f64 v[60:61], v[60:61], v[242:243]
	v_fmac_f64_e32 v[60:61], v[62:63], v[240:241]
	v_lshrrev_b16_e32 v62, 3, v98
	v_mul_u32_u24_e32 v62, 0x12f7, v62
	v_lshrrev_b32_e32 v62, 17, v62
	v_mul_lo_u16_e32 v62, 0xd8, v62
	v_sub_u16_e32 v98, v98, v62
	v_mul_lo_u16_e32 v62, 48, v98
	v_mov_b32_e32 v63, v251
	v_lshl_add_u64 v[62:63], s[6:7], 0, v[62:63]
	global_load_dwordx4 v[228:231], v[62:63], off offset:3392
	global_load_dwordx4 v[224:227], v[62:63], off offset:3376
	;; [unrolled: 1-line block ×3, first 2 shown]
	v_fmac_f64_e32 v[112:113], v[70:71], v[232:233]
	v_fmac_f64_e32 v[116:117], v[66:67], v[236:237]
	s_waitcnt vmcnt(2) lgkmcnt(8)
	v_mul_f64 v[132:133], v[48:49], v[230:231]
	s_waitcnt vmcnt(1)
	v_mul_f64 v[128:129], v[52:53], v[226:227]
	s_waitcnt vmcnt(0)
	v_mul_f64 v[62:63], v[58:59], v[222:223]
	v_fma_f64 v[122:123], v[56:57], v[220:221], -v[62:63]
	v_mul_f64 v[124:125], v[56:57], v[222:223]
	v_mul_f64 v[56:57], v[54:55], v[226:227]
	v_fma_f64 v[126:127], v[52:53], v[224:225], -v[56:57]
	v_mul_f64 v[52:53], v[50:51], v[230:231]
	v_fma_f64 v[130:131], v[48:49], v[228:229], -v[52:53]
	v_add_u16_e32 v48, 0x240, v146
	v_lshrrev_b16_e32 v49, 3, v48
	v_mul_u32_u24_e32 v49, 0x12f7, v49
	v_lshrrev_b32_e32 v99, 17, v49
	v_mul_lo_u16_e32 v49, 0xd8, v99
	v_sub_u16_e32 v120, v48, v49
	v_mul_lo_u16_e32 v48, 48, v120
	v_mov_b32_e32 v49, v251
	v_lshl_add_u64 v[48:49], s[6:7], 0, v[48:49]
	global_load_dwordx4 v[216:219], v[48:49], off offset:3392
	global_load_dwordx4 v[212:215], v[48:49], off offset:3376
	;; [unrolled: 1-line block ×3, first 2 shown]
	v_fmac_f64_e32 v[124:125], v[58:59], v[220:221]
	v_fmac_f64_e32 v[128:129], v[54:55], v[224:225]
	;; [unrolled: 1-line block ×3, first 2 shown]
	s_waitcnt vmcnt(2) lgkmcnt(4)
	v_mul_f64 v[144:145], v[36:37], v[218:219]
	s_waitcnt vmcnt(1)
	v_mul_f64 v[140:141], v[40:41], v[214:215]
	s_waitcnt vmcnt(0)
	v_mul_f64 v[48:49], v[46:47], v[210:211]
	v_fma_f64 v[134:135], v[44:45], v[208:209], -v[48:49]
	v_mul_f64 v[136:137], v[44:45], v[210:211]
	v_mul_f64 v[44:45], v[42:43], v[214:215]
	v_fma_f64 v[138:139], v[40:41], v[212:213], -v[44:45]
	v_mul_f64 v[40:41], v[38:39], v[218:219]
	v_fma_f64 v[142:143], v[36:37], v[216:217], -v[40:41]
	v_add_u16_e32 v36, 0x2d0, v146
	v_lshrrev_b16_e32 v37, 3, v36
	v_mul_u32_u24_e32 v37, 0x12f7, v37
	v_lshrrev_b32_e32 v37, 17, v37
	v_mul_lo_u16_e32 v37, 0xd8, v37
	v_sub_u16_e32 v121, v36, v37
	v_mul_lo_u16_e32 v36, 48, v121
	v_mov_b32_e32 v37, v251
	v_lshl_add_u64 v[36:37], s[6:7], 0, v[36:37]
	global_load_dwordx4 v[204:207], v[36:37], off offset:3392
	global_load_dwordx4 v[200:203], v[36:37], off offset:3376
	global_load_dwordx4 v[196:199], v[36:37], off offset:3360
	v_fmac_f64_e32 v[136:137], v[46:47], v[208:209]
	v_fmac_f64_e32 v[140:141], v[42:43], v[212:213]
	;; [unrolled: 1-line block ×3, first 2 shown]
	s_waitcnt lgkmcnt(0)
	s_barrier
	s_waitcnt vmcnt(2)
	v_mul_f64 v[158:159], v[24:25], v[206:207]
	s_waitcnt vmcnt(1)
	v_mul_f64 v[154:155], v[28:29], v[202:203]
	;; [unrolled: 2-line block ×3, first 2 shown]
	v_fma_f64 v[148:149], v[32:33], v[196:197], -v[36:37]
	v_mul_f64 v[150:151], v[32:33], v[198:199]
	v_mul_f64 v[32:33], v[30:31], v[202:203]
	v_fma_f64 v[152:153], v[28:29], v[200:201], -v[32:33]
	v_mul_f64 v[28:29], v[26:27], v[206:207]
	v_fmac_f64_e32 v[154:155], v[30:31], v[200:201]
	v_fma_f64 v[156:157], v[24:25], v[204:205], -v[28:29]
	v_fmac_f64_e32 v[158:159], v[26:27], v[204:205]
	v_add_f64 v[24:25], v[20:21], -v[94:95]
	v_add_f64 v[26:27], v[22:23], -v[88:89]
	;; [unrolled: 1-line block ×4, first 2 shown]
	v_fmac_f64_e32 v[150:151], v[34:35], v[196:197]
	v_fma_f64 v[20:21], v[20:21], 2.0, -v[24:25]
	v_fma_f64 v[22:23], v[22:23], 2.0, -v[26:27]
	v_fma_f64 v[32:33], v[104:105], 2.0, -v[28:29]
	v_fma_f64 v[34:35], v[92:93], 2.0, -v[30:31]
	v_add_f64 v[80:81], v[20:21], -v[32:33]
	v_add_f64 v[82:83], v[22:23], -v[34:35]
	v_add_f64 v[84:85], v[24:25], -v[30:31]
	v_add_f64 v[86:87], v[26:27], v[28:29]
	v_fma_f64 v[92:93], v[20:21], 2.0, -v[80:81]
	v_fma_f64 v[94:95], v[22:23], 2.0, -v[82:83]
	v_fma_f64 v[88:89], v[24:25], 2.0, -v[84:85]
	v_fma_f64 v[90:91], v[26:27], 2.0, -v[86:87]
	v_add_f64 v[20:21], v[16:17], -v[108:109]
	v_add_f64 v[22:23], v[18:19], -v[76:77]
	v_add_f64 v[24:25], v[100:101], -v[78:79]
	v_add_f64 v[26:27], v[106:107], -v[72:73]
	v_fma_f64 v[16:17], v[16:17], 2.0, -v[20:21]
	v_fma_f64 v[18:19], v[18:19], 2.0, -v[22:23]
	v_fma_f64 v[28:29], v[100:101], 2.0, -v[24:25]
	v_fma_f64 v[30:31], v[106:107], 2.0, -v[26:27]
	v_add_f64 v[68:69], v[16:17], -v[28:29]
	v_add_f64 v[70:71], v[18:19], -v[30:31]
	v_add_f64 v[64:65], v[20:21], -v[26:27]
	v_add_f64 v[66:67], v[22:23], v[24:25]
	v_fma_f64 v[76:77], v[16:17], 2.0, -v[68:69]
	v_fma_f64 v[78:79], v[18:19], 2.0, -v[70:71]
	v_fma_f64 v[72:73], v[20:21], 2.0, -v[64:65]
	v_fma_f64 v[74:75], v[22:23], 2.0, -v[66:67]
	v_add_f64 v[16:17], v[12:13], -v[114:115]
	v_add_f64 v[18:19], v[14:15], -v[116:117]
	v_add_f64 v[20:21], v[110:111], -v[118:119]
	v_add_f64 v[22:23], v[112:113], -v[60:61]
	;; [unrolled: 16-line block ×4, first 2 shown]
	v_fma_f64 v[4:5], v[4:5], 2.0, -v[8:9]
	v_fma_f64 v[6:7], v[6:7], 2.0, -v[10:11]
	;; [unrolled: 1-line block ×4, first 2 shown]
	ds_write_b128 v250, v[92:95]
	ds_write_b128 v250, v[88:91] offset:3456
	ds_write_b128 v250, v[80:83] offset:6912
	;; [unrolled: 1-line block ×3, first 2 shown]
	v_mov_b32_e32 v80, 0x360
	v_add_f64 v[20:21], v[4:5], -v[16:17]
	v_add_f64 v[22:23], v[6:7], -v[18:19]
	;; [unrolled: 1-line block ×3, first 2 shown]
	v_add_f64 v[18:19], v[10:11], v[12:13]
	v_cndmask_b32_e32 v80, 0, v80, vcc
	v_fma_f64 v[24:25], v[8:9], 2.0, -v[16:17]
	v_fma_f64 v[26:27], v[10:11], 2.0, -v[18:19]
	v_add_f64 v[8:9], v[0:1], -v[152:153]
	v_add_f64 v[10:11], v[2:3], -v[154:155]
	;; [unrolled: 1-line block ×4, first 2 shown]
	v_add_lshl_u32 v80, v97, v80, 4
	v_fma_f64 v[28:29], v[4:5], 2.0, -v[20:21]
	v_fma_f64 v[30:31], v[6:7], 2.0, -v[22:23]
	;; [unrolled: 1-line block ×6, first 2 shown]
	ds_write_b128 v80, v[76:79]
	ds_write_b128 v80, v[72:75] offset:3456
	ds_write_b128 v80, v[68:71] offset:6912
	;; [unrolled: 1-line block ×7, first 2 shown]
	v_lshlrev_b32_e32 v48, 4, v98
	v_add_f64 v[4:5], v[0:1], -v[4:5]
	v_add_f64 v[6:7], v[2:3], -v[6:7]
	ds_write_b128 v48, v[44:47] offset:27648
	ds_write_b128 v48, v[40:43] offset:31104
	;; [unrolled: 1-line block ×4, first 2 shown]
	v_mad_legacy_u16 v32, v99, s8, v120
	v_fma_f64 v[12:13], v[0:1], 2.0, -v[4:5]
	v_fma_f64 v[14:15], v[2:3], 2.0, -v[6:7]
	v_add_f64 v[0:1], v[8:9], -v[104:105]
	v_add_f64 v[2:3], v[10:11], v[100:101]
	v_lshlrev_b32_e32 v32, 4, v32
	v_add_co_u32_e32 v100, vcc, s18, v102
	v_fma_f64 v[8:9], v[8:9], 2.0, -v[0:1]
	v_fma_f64 v[10:11], v[10:11], 2.0, -v[2:3]
	ds_write_b128 v32, v[28:31]
	ds_write_b128 v32, v[24:27] offset:3456
	ds_write_b128 v32, v[20:23] offset:6912
	ds_write_b128 v32, v[16:19] offset:10368
	v_lshlrev_b32_e32 v16, 4, v121
	s_mov_b64 s[8:9], 0x35a0
	v_addc_co_u32_e32 v101, vcc, 0, v103, vcc
	v_accvgpr_write_b32 a31, v80
	v_accvgpr_write_b32 a30, v48
	;; [unrolled: 1-line block ×3, first 2 shown]
	ds_write_b128 v16, v[12:15] offset:41472
	ds_write_b128 v16, v[8:11] offset:44928
	;; [unrolled: 1-line block ×4, first 2 shown]
	v_accvgpr_write_b32 a28, v16
	s_waitcnt lgkmcnt(0)
	s_barrier
	ds_read_b128 v[8:11], v250
	ds_read_b128 v[92:95], v250 offset:13824
	ds_read_b128 v[88:91], v250 offset:27648
	;; [unrolled: 1-line block ×23, first 2 shown]
	v_lshl_add_u64 v[98:99], v[102:103], 0, s[8:9]
	global_load_dwordx4 v[184:187], v[100:101], off offset:1440
	global_load_dwordx4 v[192:195], v[98:99], off offset:32
	;; [unrolled: 1-line block ×3, first 2 shown]
	s_waitcnt vmcnt(2) lgkmcnt(14)
	v_mul_f64 v[98:99], v[94:95], v[186:187]
	v_fma_f64 v[98:99], v[92:93], v[184:185], -v[98:99]
	v_mul_f64 v[92:93], v[92:93], v[186:187]
	v_fmac_f64_e32 v[92:93], v[94:95], v[184:185]
	s_waitcnt vmcnt(0)
	v_mul_f64 v[94:95], v[90:91], v[190:191]
	v_fma_f64 v[94:95], v[88:89], v[188:189], -v[94:95]
	v_mul_f64 v[88:89], v[88:89], v[190:191]
	v_fmac_f64_e32 v[88:89], v[90:91], v[188:189]
	v_mul_f64 v[90:91], v[86:87], v[194:195]
	v_fma_f64 v[90:91], v[84:85], v[192:193], -v[90:91]
	v_mul_f64 v[84:85], v[84:85], v[194:195]
	v_fmac_f64_e32 v[84:85], v[86:87], v[192:193]
	v_mad_u64_u32 v[86:87], s[6:7], v96, 48, s[6:7]
	v_add_co_u32_e32 v100, vcc, s18, v86
	v_lshl_add_u64 v[96:97], v[86:87], 0, s[8:9]
	s_nop 0
	v_addc_co_u32_e32 v101, vcc, 0, v87, vcc
	global_load_dwordx4 v[176:179], v[100:101], off offset:1440
	global_load_dwordx4 v[180:183], v[96:97], off offset:32
	;; [unrolled: 1-line block ×3, first 2 shown]
	s_mov_b64 s[6:7], 0x50a0
	s_waitcnt vmcnt(2)
	v_mul_f64 v[96:97], v[82:83], v[178:179]
	v_fma_f64 v[108:109], v[80:81], v[176:177], -v[96:97]
	v_mul_f64 v[80:81], v[80:81], v[178:179]
	v_fmac_f64_e32 v[80:81], v[82:83], v[176:177]
	s_waitcnt vmcnt(0)
	v_mul_f64 v[82:83], v[78:79], v[174:175]
	v_fma_f64 v[82:83], v[76:77], v[172:173], -v[82:83]
	v_mul_f64 v[76:77], v[76:77], v[174:175]
	v_fmac_f64_e32 v[76:77], v[78:79], v[172:173]
	v_mul_f64 v[78:79], v[74:75], v[182:183]
	v_add_co_u32_e32 v96, vcc, s13, v86
	v_fma_f64 v[78:79], v[72:73], v[180:181], -v[78:79]
	v_mul_f64 v[72:73], v[72:73], v[182:183]
	v_addc_co_u32_e32 v97, vcc, 0, v87, vcc
	v_fmac_f64_e32 v[72:73], v[74:75], v[180:181]
	v_lshl_add_u64 v[74:75], v[86:87], 0, s[6:7]
	global_load_dwordx4 v[160:163], v[96:97], off offset:160
	global_load_dwordx4 v[168:171], v[74:75], off offset:32
	;; [unrolled: 1-line block ×3, first 2 shown]
	s_mov_b64 s[6:7], 0x6ba0
	s_waitcnt vmcnt(2)
	v_mul_f64 v[74:75], v[70:71], v[162:163]
	v_fma_f64 v[102:103], v[68:69], v[160:161], -v[74:75]
	v_mul_f64 v[144:145], v[68:69], v[162:163]
	s_waitcnt vmcnt(0) lgkmcnt(13)
	v_mul_f64 v[68:69], v[66:67], v[166:167]
	v_fma_f64 v[110:111], v[64:65], v[164:165], -v[68:69]
	v_mul_f64 v[64:65], v[64:65], v[166:167]
	v_fmac_f64_e32 v[64:65], v[66:67], v[164:165]
	s_waitcnt lgkmcnt(12)
	v_mul_f64 v[66:67], v[62:63], v[170:171]
	v_add_co_u32_e32 v68, vcc, s21, v86
	v_fma_f64 v[66:67], v[60:61], v[168:169], -v[66:67]
	v_mul_f64 v[60:61], v[60:61], v[170:171]
	v_addc_co_u32_e32 v69, vcc, 0, v87, vcc
	v_fmac_f64_e32 v[60:61], v[62:63], v[168:169]
	v_lshl_add_u64 v[62:63], v[86:87], 0, s[6:7]
	global_load_dwordx4 v[152:155], v[68:69], off offset:2976
	global_load_dwordx4 v[156:159], v[62:63], off offset:32
	;; [unrolled: 1-line block ×3, first 2 shown]
	s_mov_b64 s[6:7], 0x86a0
	v_fmac_f64_e32 v[144:145], v[70:71], v[160:161]
	s_waitcnt vmcnt(2) lgkmcnt(10)
	v_mul_f64 v[62:63], v[58:59], v[154:155]
	v_fma_f64 v[142:143], v[56:57], v[152:153], -v[62:63]
	v_mul_f64 v[62:63], v[56:57], v[154:155]
	s_waitcnt vmcnt(0) lgkmcnt(9)
	v_mul_f64 v[56:57], v[54:55], v[150:151]
	v_fma_f64 v[106:107], v[52:53], v[148:149], -v[56:57]
	v_mul_f64 v[140:141], v[52:53], v[150:151]
	s_waitcnt lgkmcnt(8)
	v_mul_f64 v[52:53], v[50:51], v[158:159]
	v_fma_f64 v[104:105], v[48:49], v[156:157], -v[52:53]
	v_add_co_u32_e32 v52, vcc, s23, v86
	v_mul_f64 v[48:49], v[48:49], v[158:159]
	s_nop 0
	v_addc_co_u32_e32 v53, vcc, 0, v87, vcc
	v_fmac_f64_e32 v[48:49], v[50:51], v[156:157]
	v_lshl_add_u64 v[50:51], v[86:87], 0, s[6:7]
	global_load_dwordx4 v[124:127], v[52:53], off offset:1696
	global_load_dwordx4 v[132:135], v[50:51], off offset:32
	;; [unrolled: 1-line block ×3, first 2 shown]
	s_mov_b64 s[6:7], 0xa1a0
	v_fmac_f64_e32 v[140:141], v[54:55], v[148:149]
	v_fmac_f64_e32 v[62:63], v[58:59], v[152:153]
	s_waitcnt vmcnt(2) lgkmcnt(6)
	v_mul_f64 v[50:51], v[46:47], v[126:127]
	v_fma_f64 v[138:139], v[44:45], v[124:125], -v[50:51]
	v_mul_f64 v[44:45], v[44:45], v[126:127]
	v_fmac_f64_e32 v[44:45], v[46:47], v[124:125]
	s_waitcnt vmcnt(0) lgkmcnt(5)
	v_mul_f64 v[46:47], v[42:43], v[130:131]
	s_waitcnt lgkmcnt(4)
	v_mul_f64 v[136:137], v[36:37], v[134:135]
	v_fma_f64 v[46:47], v[40:41], v[128:129], -v[46:47]
	v_mul_f64 v[50:51], v[40:41], v[130:131]
	v_mul_f64 v[40:41], v[38:39], v[134:135]
	v_fmac_f64_e32 v[136:137], v[38:39], v[132:133]
	v_add_co_u32_e32 v38, vcc, s19, v86
	v_fma_f64 v[100:101], v[36:37], v[132:133], -v[40:41]
	s_nop 0
	v_addc_co_u32_e32 v39, vcc, 0, v87, vcc
	v_lshl_add_u64 v[36:37], v[86:87], 0, s[6:7]
	global_load_dwordx4 v[116:119], v[38:39], off offset:416
	global_load_dwordx4 v[120:123], v[36:37], off offset:32
	;; [unrolled: 1-line block ×3, first 2 shown]
	v_fmac_f64_e32 v[50:51], v[42:43], v[128:129]
	v_add_f64 v[40:41], v[98:99], -v[90:91]
	v_add_f64 v[42:43], v[92:93], -v[84:85]
	v_fma_f64 v[52:53], v[98:99], 2.0, -v[40:41]
	v_fma_f64 v[54:55], v[92:93], 2.0, -v[42:43]
	s_waitcnt vmcnt(2) lgkmcnt(2)
	v_mul_f64 v[36:37], v[2:3], v[118:119]
	v_fma_f64 v[36:37], v[0:1], v[116:117], -v[36:37]
	v_mul_f64 v[0:1], v[0:1], v[118:119]
	v_fmac_f64_e32 v[0:1], v[2:3], v[116:117]
	s_waitcnt vmcnt(0) lgkmcnt(1)
	v_mul_f64 v[2:3], v[6:7], v[114:115]
	v_fma_f64 v[2:3], v[4:5], v[112:113], -v[2:3]
	v_mul_f64 v[4:5], v[4:5], v[114:115]
	v_fmac_f64_e32 v[4:5], v[6:7], v[112:113]
	s_waitcnt lgkmcnt(0)
	v_mul_f64 v[6:7], v[26:27], v[122:123]
	v_mul_f64 v[38:39], v[24:25], v[122:123]
	v_fma_f64 v[6:7], v[24:25], v[120:121], -v[6:7]
	v_fmac_f64_e32 v[38:39], v[26:27], v[120:121]
	v_add_f64 v[24:25], v[8:9], -v[94:95]
	v_add_f64 v[26:27], v[10:11], -v[88:89]
	v_fma_f64 v[8:9], v[8:9], 2.0, -v[24:25]
	v_fma_f64 v[10:11], v[10:11], 2.0, -v[26:27]
	v_add_f64 v[84:85], v[8:9], -v[52:53]
	v_add_f64 v[86:87], v[10:11], -v[54:55]
	;; [unrolled: 1-line block ×3, first 2 shown]
	v_add_f64 v[90:91], v[26:27], v[40:41]
	v_fma_f64 v[96:97], v[8:9], 2.0, -v[84:85]
	v_fma_f64 v[98:99], v[10:11], 2.0, -v[86:87]
	v_fma_f64 v[92:93], v[24:25], 2.0, -v[88:89]
	v_fma_f64 v[94:95], v[26:27], 2.0, -v[90:91]
	v_add_f64 v[8:9], v[12:13], -v[82:83]
	v_add_f64 v[10:11], v[14:15], -v[76:77]
	;; [unrolled: 1-line block ×4, first 2 shown]
	v_fma_f64 v[12:13], v[12:13], 2.0, -v[8:9]
	v_fma_f64 v[14:15], v[14:15], 2.0, -v[10:11]
	;; [unrolled: 1-line block ×4, first 2 shown]
	v_add_f64 v[68:69], v[8:9], -v[26:27]
	v_add_f64 v[70:71], v[10:11], v[24:25]
	v_add_f64 v[72:73], v[12:13], -v[40:41]
	v_add_f64 v[74:75], v[14:15], -v[42:43]
	v_fma_f64 v[76:77], v[8:9], 2.0, -v[68:69]
	v_fma_f64 v[78:79], v[10:11], 2.0, -v[70:71]
	v_add_f64 v[8:9], v[16:17], -v[110:111]
	v_add_f64 v[10:11], v[18:19], -v[64:65]
	v_fma_f64 v[80:81], v[12:13], 2.0, -v[72:73]
	v_fma_f64 v[82:83], v[14:15], 2.0, -v[74:75]
	;; [unrolled: 1-line block ×4, first 2 shown]
	v_add_f64 v[16:17], v[102:103], -v[66:67]
	v_add_f64 v[18:19], v[144:145], -v[60:61]
	v_fma_f64 v[24:25], v[102:103], 2.0, -v[16:17]
	v_fma_f64 v[26:27], v[144:145], 2.0, -v[18:19]
	v_add_f64 v[56:57], v[12:13], -v[24:25]
	v_add_f64 v[58:59], v[14:15], -v[26:27]
	v_fma_f64 v[64:65], v[12:13], 2.0, -v[56:57]
	v_fma_f64 v[66:67], v[14:15], 2.0, -v[58:59]
	v_add_f64 v[12:13], v[20:21], -v[106:107]
	v_add_f64 v[14:15], v[22:23], -v[140:141]
	;; [unrolled: 1-line block ×3, first 2 shown]
	v_add_f64 v[54:55], v[10:11], v[16:17]
	v_fma_f64 v[16:17], v[20:21], 2.0, -v[12:13]
	v_fma_f64 v[18:19], v[22:23], 2.0, -v[14:15]
	v_add_f64 v[20:21], v[142:143], -v[104:105]
	v_add_f64 v[22:23], v[62:63], -v[48:49]
	v_fma_f64 v[26:27], v[62:63], 2.0, -v[22:23]
	v_add_f64 v[110:111], v[14:15], v[20:21]
	v_fma_f64 v[24:25], v[142:143], 2.0, -v[20:21]
	v_add_f64 v[42:43], v[18:19], -v[26:27]
	v_add_f64 v[108:109], v[12:13], -v[22:23]
	v_fma_f64 v[62:63], v[14:15], 2.0, -v[110:111]
	v_add_f64 v[14:15], v[30:31], -v[50:51]
	v_add_f64 v[26:27], v[44:45], -v[136:137]
	;; [unrolled: 1-line block ×3, first 2 shown]
	v_fma_f64 v[106:107], v[18:19], 2.0, -v[42:43]
	v_fma_f64 v[60:61], v[12:13], 2.0, -v[108:109]
	v_add_f64 v[12:13], v[28:29], -v[46:47]
	v_fma_f64 v[18:19], v[30:31], 2.0, -v[14:15]
	v_add_f64 v[24:25], v[138:139], -v[100:101]
	v_fma_f64 v[22:23], v[44:45], 2.0, -v[26:27]
	v_fma_f64 v[104:105], v[16:17], 2.0, -v[40:41]
	;; [unrolled: 1-line block ×4, first 2 shown]
	v_add_f64 v[22:23], v[18:19], -v[22:23]
	v_add_f64 v[44:45], v[32:33], -v[2:3]
	;; [unrolled: 1-line block ×3, first 2 shown]
	v_fma_f64 v[30:31], v[18:19], 2.0, -v[22:23]
	v_add_f64 v[18:19], v[14:15], v[24:25]
	v_add_f64 v[46:47], v[34:35], -v[4:5]
	v_fma_f64 v[2:3], v[32:33], 2.0, -v[44:45]
	v_add_f64 v[32:33], v[36:37], -v[6:7]
	v_fma_f64 v[28:29], v[16:17], 2.0, -v[20:21]
	;; [unrolled: 2-line block ×3, first 2 shown]
	v_fma_f64 v[14:15], v[34:35], 2.0, -v[46:47]
	v_add_f64 v[34:35], v[0:1], -v[38:39]
	v_fma_f64 v[4:5], v[36:37], 2.0, -v[32:33]
	v_fma_f64 v[0:1], v[0:1], 2.0, -v[34:35]
	v_add_f64 v[4:5], v[2:3], -v[4:5]
	v_fma_f64 v[8:9], v[8:9], 2.0, -v[52:53]
	v_fma_f64 v[10:11], v[10:11], 2.0, -v[54:55]
	;; [unrolled: 1-line block ×3, first 2 shown]
	v_add_f64 v[6:7], v[14:15], -v[0:1]
	v_fma_f64 v[12:13], v[2:3], 2.0, -v[4:5]
	v_add_f64 v[0:1], v[44:45], -v[34:35]
	v_add_f64 v[2:3], v[46:47], v[32:33]
	v_fma_f64 v[14:15], v[14:15], 2.0, -v[6:7]
	v_fma_f64 v[32:33], v[44:45], 2.0, -v[0:1]
	v_fma_f64 v[34:35], v[46:47], 2.0, -v[2:3]
	ds_write_b128 v250, v[96:99]
	ds_write_b128 v250, v[92:95] offset:13824
	ds_write_b128 v250, v[84:87] offset:27648
	;; [unrolled: 1-line block ×23, first 2 shown]
	s_waitcnt lgkmcnt(0)
	s_barrier
	ds_read_b128 v[0:3], v250
	global_load_dwordx4 v[8:11], v250, s[10:11]
	v_lshl_add_u64 v[6:7], s[10:11], 0, v[250:251]
	s_waitcnt vmcnt(0) lgkmcnt(0)
	v_mul_f64 v[4:5], v[2:3], v[10:11]
	v_fma_f64 v[12:13], v[0:1], v[8:9], -v[4:5]
	v_add_co_u32_e32 v4, vcc, s12, v6
	v_mul_f64 v[14:15], v[0:1], v[10:11]
	s_nop 0
	v_addc_co_u32_e32 v5, vcc, 0, v7, vcc
	v_fmac_f64_e32 v[14:15], v[2:3], v[8:9]
	global_load_dwordx4 v[8:11], v[4:5], off offset:1024
	ds_read_b128 v[0:3], v250 offset:9216
	ds_write_b128 v250, v[12:15]
	s_waitcnt vmcnt(0) lgkmcnt(1)
	v_mul_f64 v[12:13], v[2:3], v[10:11]
	v_mul_f64 v[14:15], v[0:1], v[10:11]
	v_fma_f64 v[12:13], v[0:1], v[8:9], -v[12:13]
	v_fmac_f64_e32 v[14:15], v[2:3], v[8:9]
	v_add_co_u32_e32 v8, vcc, s16, v6
	ds_read_b128 v[0:3], v250 offset:18432
	s_nop 0
	v_addc_co_u32_e32 v9, vcc, 0, v7, vcc
	global_load_dwordx4 v[8:11], v[8:9], off offset:2048
	ds_write_b128 v250, v[12:15] offset:9216
	s_waitcnt vmcnt(0) lgkmcnt(1)
	v_mul_f64 v[12:13], v[2:3], v[10:11]
	v_mul_f64 v[14:15], v[0:1], v[10:11]
	v_fma_f64 v[12:13], v[0:1], v[8:9], -v[12:13]
	v_fmac_f64_e32 v[14:15], v[2:3], v[8:9]
	v_add_co_u32_e32 v8, vcc, s21, v6
	ds_write_b128 v250, v[12:15] offset:18432
	s_nop 0
	v_addc_co_u32_e32 v9, vcc, 0, v7, vcc
	global_load_dwordx4 v[10:13], v[8:9], off offset:3072
	ds_read_b128 v[0:3], v250 offset:27648
	s_waitcnt vmcnt(0) lgkmcnt(0)
	v_mul_f64 v[14:15], v[2:3], v[12:13]
	v_mul_f64 v[16:17], v[0:1], v[12:13]
	v_fma_f64 v[14:15], v[0:1], v[10:11], -v[14:15]
	v_fmac_f64_e32 v[16:17], v[2:3], v[10:11]
	scratch_load_dword v10, off, off        ; 4-byte Folded Reload
	ds_read_b128 v[0:3], v250 offset:36864
	ds_write_b128 v250, v[14:17] offset:27648
	s_waitcnt vmcnt(0)
	global_load_dwordx4 v[10:13], v10, s[10:11]
	s_waitcnt vmcnt(0) lgkmcnt(1)
	v_mul_f64 v[14:15], v[2:3], v[12:13]
	v_mul_f64 v[16:17], v[0:1], v[12:13]
	v_fma_f64 v[14:15], v[0:1], v[10:11], -v[14:15]
	v_fmac_f64_e32 v[16:17], v[2:3], v[10:11]
	v_add_co_u32_e32 v10, vcc, s22, v6
	ds_write_b128 v250, v[14:17] offset:36864
	s_nop 0
	v_addc_co_u32_e32 v11, vcc, 0, v7, vcc
	global_load_dwordx4 v[12:15], v[10:11], off offset:1024
	ds_read_b128 v[0:3], v250 offset:46080
	s_waitcnt vmcnt(0) lgkmcnt(0)
	v_mul_f64 v[16:17], v[2:3], v[14:15]
	v_mul_f64 v[18:19], v[0:1], v[14:15]
	v_fma_f64 v[16:17], v[0:1], v[12:13], -v[16:17]
	v_fmac_f64_e32 v[18:19], v[2:3], v[12:13]
	ds_read_b128 v[0:3], v250 offset:2304
	global_load_dwordx4 v[12:15], v250, s[10:11] offset:2304
	ds_write_b128 v250, v[16:19] offset:46080
	s_waitcnt vmcnt(0) lgkmcnt(1)
	v_mul_f64 v[16:17], v[2:3], v[14:15]
	v_mul_f64 v[18:19], v[0:1], v[14:15]
	v_fma_f64 v[16:17], v[0:1], v[12:13], -v[16:17]
	v_fmac_f64_e32 v[18:19], v[2:3], v[12:13]
	global_load_dwordx4 v[12:15], v[4:5], off offset:3328
	ds_read_b128 v[0:3], v250 offset:11520
	ds_write_b128 v250, v[16:19] offset:2304
	s_waitcnt vmcnt(0) lgkmcnt(1)
	v_mul_f64 v[4:5], v[2:3], v[14:15]
	v_fma_f64 v[16:17], v[0:1], v[12:13], -v[4:5]
	v_add_co_u32_e32 v4, vcc, s13, v6
	v_mul_f64 v[18:19], v[0:1], v[14:15]
	s_nop 0
	v_addc_co_u32_e32 v5, vcc, 0, v7, vcc
	v_fmac_f64_e32 v[18:19], v[2:3], v[12:13]
	global_load_dwordx4 v[12:15], v[4:5], off offset:256
	ds_read_b128 v[0:3], v250 offset:20736
	v_add_co_u32_e32 v20, vcc, s14, v6
	ds_write_b128 v250, v[16:19] offset:11520
	s_nop 0
	v_addc_co_u32_e32 v21, vcc, 0, v7, vcc
	s_waitcnt vmcnt(0) lgkmcnt(1)
	v_mul_f64 v[16:17], v[2:3], v[14:15]
	v_mul_f64 v[18:19], v[0:1], v[14:15]
	v_fma_f64 v[16:17], v[0:1], v[12:13], -v[16:17]
	v_fmac_f64_e32 v[18:19], v[2:3], v[12:13]
	global_load_dwordx4 v[12:15], v[20:21], off offset:1280
	ds_read_b128 v[0:3], v250 offset:29952
	ds_write_b128 v250, v[16:19] offset:20736
	s_waitcnt vmcnt(0) lgkmcnt(1)
	v_mul_f64 v[16:17], v[2:3], v[14:15]
	v_mul_f64 v[18:19], v[0:1], v[14:15]
	v_fma_f64 v[16:17], v[0:1], v[12:13], -v[16:17]
	v_fmac_f64_e32 v[18:19], v[2:3], v[12:13]
	v_add_co_u32_e32 v12, vcc, s15, v6
	ds_read_b128 v[0:3], v250 offset:39168
	s_nop 0
	v_addc_co_u32_e32 v13, vcc, 0, v7, vcc
	global_load_dwordx4 v[12:15], v[12:13], off offset:2304
	ds_write_b128 v250, v[16:19] offset:29952
	s_waitcnt vmcnt(0) lgkmcnt(1)
	v_mul_f64 v[16:17], v[2:3], v[14:15]
	v_mul_f64 v[18:19], v[0:1], v[14:15]
	v_fma_f64 v[16:17], v[0:1], v[12:13], -v[16:17]
	v_fmac_f64_e32 v[18:19], v[2:3], v[12:13]
	global_load_dwordx4 v[10:13], v[10:11], off offset:3328
	ds_read_b128 v[0:3], v250 offset:48384
	ds_write_b128 v250, v[16:19] offset:39168
	v_add_co_u32_e32 v18, vcc, s17, v6
	s_waitcnt vmcnt(0) lgkmcnt(1)
	v_mul_f64 v[14:15], v[2:3], v[12:13]
	v_mul_f64 v[16:17], v[0:1], v[12:13]
	v_addc_co_u32_e32 v19, vcc, 0, v7, vcc
	v_fma_f64 v[14:15], v[0:1], v[10:11], -v[14:15]
	v_fmac_f64_e32 v[16:17], v[2:3], v[10:11]
	global_load_dwordx4 v[10:13], v[18:19], off offset:512
	ds_read_b128 v[0:3], v250 offset:4608
	v_add_co_u32_e32 v22, vcc, s18, v6
	ds_write_b128 v250, v[14:17] offset:48384
	s_nop 0
	v_addc_co_u32_e32 v23, vcc, 0, v7, vcc
	s_waitcnt vmcnt(0) lgkmcnt(1)
	v_mul_f64 v[14:15], v[2:3], v[12:13]
	v_mul_f64 v[16:17], v[0:1], v[12:13]
	v_fma_f64 v[14:15], v[0:1], v[10:11], -v[14:15]
	v_fmac_f64_e32 v[16:17], v[2:3], v[10:11]
	global_load_dwordx4 v[10:13], v[22:23], off offset:1536
	ds_read_b128 v[0:3], v250 offset:13824
	ds_write_b128 v250, v[14:17] offset:4608
	s_waitcnt vmcnt(0) lgkmcnt(1)
	v_mul_f64 v[14:15], v[2:3], v[12:13]
	v_mul_f64 v[16:17], v[0:1], v[12:13]
	v_fma_f64 v[14:15], v[0:1], v[10:11], -v[14:15]
	v_fmac_f64_e32 v[16:17], v[2:3], v[10:11]
	global_load_dwordx4 v[10:13], v[4:5], off offset:2560
	ds_read_b128 v[0:3], v250 offset:23040
	ds_write_b128 v250, v[14:17] offset:13824
	s_waitcnt vmcnt(0) lgkmcnt(1)
	v_mul_f64 v[4:5], v[2:3], v[12:13]
	v_mul_f64 v[16:17], v[0:1], v[12:13]
	v_fma_f64 v[14:15], v[0:1], v[10:11], -v[4:5]
	v_fmac_f64_e32 v[16:17], v[2:3], v[10:11]
	global_load_dwordx4 v[10:13], v[20:21], off offset:3584
	ds_read_b128 v[0:3], v250 offset:32256
	v_add_co_u32_e32 v20, vcc, s19, v6
	ds_write_b128 v250, v[14:17] offset:23040
	s_nop 0
	v_addc_co_u32_e32 v21, vcc, 0, v7, vcc
	s_waitcnt vmcnt(0) lgkmcnt(1)
	v_mul_f64 v[4:5], v[2:3], v[12:13]
	v_mul_f64 v[16:17], v[0:1], v[12:13]
	v_fma_f64 v[14:15], v[0:1], v[10:11], -v[4:5]
	v_fmac_f64_e32 v[16:17], v[2:3], v[10:11]
	global_load_dwordx4 v[10:13], v[20:21], off offset:512
	ds_read_b128 v[0:3], v250 offset:41472
	ds_write_b128 v250, v[14:17] offset:32256
	s_waitcnt vmcnt(0) lgkmcnt(1)
	v_mul_f64 v[4:5], v[2:3], v[12:13]
	v_fma_f64 v[14:15], v[0:1], v[10:11], -v[4:5]
	v_add_co_u32_e32 v4, vcc, s20, v6
	v_mul_f64 v[16:17], v[0:1], v[12:13]
	s_nop 0
	v_addc_co_u32_e32 v5, vcc, 0, v7, vcc
	v_fmac_f64_e32 v[16:17], v[2:3], v[10:11]
	global_load_dwordx4 v[10:13], v[4:5], off offset:1536
	ds_read_b128 v[0:3], v250 offset:50688
	ds_write_b128 v250, v[14:17] offset:41472
	v_add_co_u32_e32 v6, vcc, s23, v6
	s_waitcnt vmcnt(0) lgkmcnt(1)
	v_mul_f64 v[14:15], v[2:3], v[12:13]
	v_mul_f64 v[16:17], v[0:1], v[12:13]
	v_fma_f64 v[14:15], v[0:1], v[10:11], -v[14:15]
	v_fmac_f64_e32 v[16:17], v[2:3], v[10:11]
	global_load_dwordx4 v[10:13], v[18:19], off offset:2816
	ds_read_b128 v[0:3], v250 offset:6912
	ds_write_b128 v250, v[14:17] offset:50688
	v_addc_co_u32_e32 v7, vcc, 0, v7, vcc
	s_waitcnt vmcnt(0) lgkmcnt(1)
	v_mul_f64 v[14:15], v[2:3], v[12:13]
	v_mul_f64 v[16:17], v[0:1], v[12:13]
	v_fma_f64 v[14:15], v[0:1], v[10:11], -v[14:15]
	v_fmac_f64_e32 v[16:17], v[2:3], v[10:11]
	global_load_dwordx4 v[10:13], v[22:23], off offset:3840
	ds_read_b128 v[0:3], v250 offset:16128
	ds_write_b128 v250, v[14:17] offset:6912
	s_waitcnt vmcnt(0) lgkmcnt(1)
	v_mul_f64 v[14:15], v[2:3], v[12:13]
	v_mul_f64 v[16:17], v[0:1], v[12:13]
	v_fma_f64 v[14:15], v[0:1], v[10:11], -v[14:15]
	v_fmac_f64_e32 v[16:17], v[2:3], v[10:11]
	global_load_dwordx4 v[8:11], v[8:9], off offset:768
	ds_read_b128 v[0:3], v250 offset:25344
	ds_write_b128 v250, v[14:17] offset:16128
	s_waitcnt vmcnt(0) lgkmcnt(1)
	v_mul_f64 v[12:13], v[2:3], v[10:11]
	v_mul_f64 v[14:15], v[0:1], v[10:11]
	v_fma_f64 v[12:13], v[0:1], v[8:9], -v[12:13]
	v_fmac_f64_e32 v[14:15], v[2:3], v[8:9]
	global_load_dwordx4 v[6:9], v[6:7], off offset:1792
	ds_read_b128 v[0:3], v250 offset:34560
	ds_write_b128 v250, v[12:15] offset:25344
	s_waitcnt vmcnt(0) lgkmcnt(1)
	v_mul_f64 v[10:11], v[2:3], v[8:9]
	v_mul_f64 v[12:13], v[0:1], v[8:9]
	v_fma_f64 v[10:11], v[0:1], v[6:7], -v[10:11]
	v_fmac_f64_e32 v[12:13], v[2:3], v[6:7]
	global_load_dwordx4 v[6:9], v[20:21], off offset:2816
	ds_read_b128 v[0:3], v250 offset:43776
	ds_write_b128 v250, v[10:13] offset:34560
	s_waitcnt vmcnt(0) lgkmcnt(1)
	v_mul_f64 v[10:11], v[2:3], v[8:9]
	v_mul_f64 v[12:13], v[0:1], v[8:9]
	v_fma_f64 v[10:11], v[0:1], v[6:7], -v[10:11]
	v_fmac_f64_e32 v[12:13], v[2:3], v[6:7]
	global_load_dwordx4 v[4:7], v[4:5], off offset:3840
	ds_read_b128 v[0:3], v250 offset:52992
	ds_write_b128 v250, v[10:13] offset:43776
	s_waitcnt vmcnt(0) lgkmcnt(1)
	v_mul_f64 v[8:9], v[2:3], v[6:7]
	v_mul_f64 v[10:11], v[0:1], v[6:7]
	v_fma_f64 v[8:9], v[0:1], v[4:5], -v[8:9]
	v_fmac_f64_e32 v[10:11], v[2:3], v[4:5]
	ds_write_b128 v250, v[8:11] offset:52992
	s_waitcnt lgkmcnt(0)
	s_barrier
	ds_read_b128 v[64:67], v250
	ds_read_b128 v[76:79], v250 offset:9216
	ds_read_b128 v[88:91], v250 offset:18432
	;; [unrolled: 1-line block ×23, first 2 shown]
	s_waitcnt lgkmcnt(14)
	v_add_f64 v[96:97], v[64:65], v[88:89]
	v_add_f64 v[104:105], v[96:97], v[92:93]
	;; [unrolled: 1-line block ×3, first 2 shown]
	v_fmac_f64_e32 v[64:65], -0.5, v[96:97]
	v_add_f64 v[96:97], v[90:91], -v[94:95]
	v_fma_f64 v[142:143], s[4:5], v[96:97], v[64:65]
	v_fmac_f64_e32 v[64:65], s[2:3], v[96:97]
	v_add_f64 v[96:97], v[66:67], v[90:91]
	v_add_f64 v[90:91], v[90:91], v[94:95]
	v_fmac_f64_e32 v[66:67], -0.5, v[90:91]
	v_add_f64 v[88:89], v[88:89], -v[92:93]
	v_fma_f64 v[102:103], s[2:3], v[88:89], v[66:67]
	v_fmac_f64_e32 v[66:67], s[4:5], v[88:89]
	v_add_f64 v[88:89], v[76:77], v[80:81]
	v_add_f64 v[106:107], v[88:89], v[84:85]
	;; [unrolled: 1-line block ×3, first 2 shown]
	v_fmac_f64_e32 v[76:77], -0.5, v[88:89]
	v_add_f64 v[88:89], v[82:83], -v[86:87]
	v_fma_f64 v[90:91], s[4:5], v[88:89], v[76:77]
	v_fmac_f64_e32 v[76:77], s[2:3], v[88:89]
	v_add_f64 v[88:89], v[78:79], v[82:83]
	v_add_f64 v[82:83], v[82:83], v[86:87]
	v_fmac_f64_e32 v[78:79], -0.5, v[82:83]
	v_add_f64 v[80:81], v[80:81], -v[84:85]
	v_fma_f64 v[82:83], s[2:3], v[80:81], v[78:79]
	v_fmac_f64_e32 v[78:79], s[4:5], v[80:81]
	v_add_f64 v[108:109], v[88:89], v[86:87]
	v_mul_f64 v[86:87], v[78:79], s[4:5]
	v_fmac_f64_e32 v[86:87], -0.5, v[76:77]
	v_mul_f64 v[78:79], v[78:79], -0.5
	v_add_f64 v[100:101], v[96:97], v[94:95]
	v_add_f64 v[88:89], v[64:65], v[86:87]
	v_fmac_f64_e32 v[78:79], s[2:3], v[76:77]
	v_add_f64 v[76:77], v[64:65], -v[86:87]
	v_add_f64 v[64:65], v[4:5], v[68:69]
	v_mul_f64 v[84:85], v[82:83], s[4:5]
	v_add_f64 v[94:95], v[100:101], v[108:109]
	v_mul_f64 v[110:111], v[82:83], 0.5
	v_add_f64 v[82:83], v[100:101], -v[108:109]
	s_waitcnt lgkmcnt(13)
	v_add_f64 v[100:101], v[64:65], v[24:25]
	v_add_f64 v[64:65], v[68:69], v[24:25]
	v_fmac_f64_e32 v[110:111], s[2:3], v[90:91]
	v_fmac_f64_e32 v[4:5], -0.5, v[64:65]
	v_add_f64 v[64:65], v[70:71], -v[26:27]
	v_add_f64 v[98:99], v[102:103], v[110:111]
	v_add_f64 v[86:87], v[102:103], -v[110:111]
	v_fma_f64 v[102:103], s[4:5], v[64:65], v[4:5]
	v_fmac_f64_e32 v[4:5], s[2:3], v[64:65]
	v_add_f64 v[64:65], v[6:7], v[70:71]
	v_add_f64 v[92:93], v[104:105], v[106:107]
	v_add_f64 v[80:81], v[104:105], -v[106:107]
	v_add_f64 v[104:105], v[64:65], v[26:27]
	v_add_f64 v[26:27], v[70:71], v[26:27]
	v_fmac_f64_e32 v[6:7], -0.5, v[26:27]
	v_add_f64 v[24:25], v[68:69], -v[24:25]
	s_waitcnt lgkmcnt(12)
	v_add_f64 v[64:65], v[56:57], v[60:61]
	v_fma_f64 v[26:27], s[2:3], v[24:25], v[6:7]
	v_fmac_f64_e32 v[6:7], s[4:5], v[24:25]
	v_add_f64 v[24:25], v[0:1], v[56:57]
	v_fmac_f64_e32 v[0:1], -0.5, v[64:65]
	v_add_f64 v[64:65], v[58:59], -v[62:63]
	v_fma_f64 v[70:71], s[4:5], v[64:65], v[0:1]
	v_fmac_f64_e32 v[0:1], s[2:3], v[64:65]
	v_add_f64 v[64:65], v[2:3], v[58:59]
	v_add_f64 v[58:59], v[58:59], v[62:63]
	v_fmac_f64_e32 v[2:3], -0.5, v[58:59]
	v_add_f64 v[56:57], v[56:57], -v[60:61]
	v_fma_f64 v[58:59], s[2:3], v[56:57], v[2:3]
	v_fmac_f64_e32 v[2:3], s[4:5], v[56:57]
	v_add_f64 v[24:25], v[24:25], v[60:61]
	v_mul_f64 v[108:109], v[2:3], s[4:5]
	v_mul_f64 v[110:111], v[2:3], -0.5
	v_add_f64 v[106:107], v[64:65], v[62:63]
	v_add_f64 v[64:65], v[100:101], v[24:25]
	v_fmac_f64_e32 v[108:109], -0.5, v[0:1]
	v_fmac_f64_e32 v[110:111], s[2:3], v[0:1]
	v_add_f64 v[0:1], v[100:101], -v[24:25]
	s_waitcnt lgkmcnt(9)
	v_add_f64 v[24:25], v[16:17], v[32:33]
	v_mul_f64 v[56:57], v[58:59], s[4:5]
	s_waitcnt lgkmcnt(7)
	v_add_f64 v[100:101], v[24:25], v[28:29]
	v_add_f64 v[24:25], v[32:33], v[28:29]
	v_fmac_f64_e32 v[56:57], 0.5, v[70:71]
	v_fmac_f64_e32 v[16:17], -0.5, v[24:25]
	v_add_f64 v[24:25], v[34:35], -v[30:31]
	v_add_f64 v[68:69], v[102:103], v[56:57]
	v_add_f64 v[56:57], v[102:103], -v[56:57]
	v_fma_f64 v[102:103], s[4:5], v[24:25], v[16:17]
	v_fmac_f64_e32 v[16:17], s[2:3], v[24:25]
	v_add_f64 v[24:25], v[18:19], v[34:35]
	v_fmac_f64_e32 v[84:85], 0.5, v[90:91]
	v_add_f64 v[90:91], v[66:67], v[78:79]
	v_add_f64 v[78:79], v[66:67], -v[78:79]
	v_add_f64 v[66:67], v[104:105], v[106:107]
	v_add_f64 v[2:3], v[104:105], -v[106:107]
	v_add_f64 v[104:105], v[24:25], v[30:31]
	v_add_f64 v[24:25], v[34:35], v[30:31]
	v_fmac_f64_e32 v[18:19], -0.5, v[24:25]
	v_add_f64 v[24:25], v[32:33], -v[28:29]
	v_fma_f64 v[106:107], s[2:3], v[24:25], v[18:19]
	v_fmac_f64_e32 v[18:19], s[4:5], v[24:25]
	v_add_f64 v[24:25], v[8:9], v[40:41]
	v_add_f64 v[60:61], v[4:5], v[108:109]
	v_mul_f64 v[58:59], v[58:59], 0.5
	v_add_f64 v[4:5], v[4:5], -v[108:109]
	s_waitcnt lgkmcnt(6)
	v_add_f64 v[108:109], v[24:25], v[36:37]
	v_add_f64 v[24:25], v[40:41], v[36:37]
	v_fmac_f64_e32 v[58:59], s[2:3], v[70:71]
	v_fmac_f64_e32 v[8:9], -0.5, v[24:25]
	v_add_f64 v[24:25], v[42:43], -v[38:39]
	v_add_f64 v[70:71], v[26:27], v[58:59]
	v_add_f64 v[58:59], v[26:27], -v[58:59]
	v_fma_f64 v[26:27], s[4:5], v[24:25], v[8:9]
	v_fmac_f64_e32 v[8:9], s[2:3], v[24:25]
	v_add_f64 v[24:25], v[10:11], v[42:43]
	v_add_f64 v[62:63], v[6:7], v[110:111]
	v_add_f64 v[6:7], v[6:7], -v[110:111]
	v_add_f64 v[110:111], v[24:25], v[38:39]
	v_add_f64 v[24:25], v[42:43], v[38:39]
	v_fmac_f64_e32 v[10:11], -0.5, v[24:25]
	v_add_f64 v[24:25], v[40:41], -v[36:37]
	v_fma_f64 v[34:35], s[2:3], v[24:25], v[10:11]
	v_fmac_f64_e32 v[10:11], s[4:5], v[24:25]
	v_mul_f64 v[40:41], v[10:11], s[4:5]
	v_fmac_f64_e32 v[40:41], -0.5, v[8:9]
	v_add_f64 v[32:33], v[16:17], v[40:41]
	v_add_f64 v[16:17], v[16:17], -v[40:41]
	s_waitcnt lgkmcnt(3)
	v_add_f64 v[40:41], v[20:21], v[48:49]
	v_add_f64 v[28:29], v[100:101], v[108:109]
	v_mul_f64 v[38:39], v[34:35], s[4:5]
	v_add_f64 v[36:37], v[100:101], -v[108:109]
	s_waitcnt lgkmcnt(1)
	v_add_f64 v[100:101], v[40:41], v[44:45]
	v_add_f64 v[40:41], v[48:49], v[44:45]
	v_fmac_f64_e32 v[38:39], 0.5, v[26:27]
	v_mul_f64 v[136:137], v[10:11], -0.5
	v_fmac_f64_e32 v[20:21], -0.5, v[40:41]
	v_add_f64 v[40:41], v[50:51], -v[46:47]
	v_add_f64 v[24:25], v[102:103], v[38:39]
	v_fmac_f64_e32 v[136:137], s[2:3], v[8:9]
	v_add_f64 v[8:9], v[102:103], -v[38:39]
	v_fma_f64 v[102:103], s[4:5], v[40:41], v[20:21]
	v_fmac_f64_e32 v[20:21], s[2:3], v[40:41]
	v_add_f64 v[40:41], v[22:23], v[50:51]
	v_add_f64 v[30:31], v[104:105], v[110:111]
	v_mul_f64 v[42:43], v[34:35], 0.5
	v_add_f64 v[38:39], v[104:105], -v[110:111]
	v_add_f64 v[104:105], v[40:41], v[46:47]
	v_add_f64 v[40:41], v[50:51], v[46:47]
	v_fmac_f64_e32 v[42:43], s[2:3], v[26:27]
	v_fmac_f64_e32 v[22:23], -0.5, v[40:41]
	v_add_f64 v[40:41], v[48:49], -v[44:45]
	v_add_f64 v[26:27], v[106:107], v[42:43]
	v_add_f64 v[10:11], v[106:107], -v[42:43]
	v_fma_f64 v[106:107], s[2:3], v[40:41], v[22:23]
	v_fmac_f64_e32 v[22:23], s[4:5], v[40:41]
	v_add_f64 v[40:41], v[12:13], v[72:73]
	s_waitcnt lgkmcnt(0)
	v_add_f64 v[108:109], v[40:41], v[52:53]
	v_add_f64 v[40:41], v[72:73], v[52:53]
	v_fmac_f64_e32 v[12:13], -0.5, v[40:41]
	v_add_f64 v[40:41], v[74:75], -v[54:55]
	v_fma_f64 v[42:43], s[4:5], v[40:41], v[12:13]
	v_fmac_f64_e32 v[12:13], s[2:3], v[40:41]
	v_add_f64 v[40:41], v[14:15], v[74:75]
	v_add_f64 v[110:111], v[40:41], v[54:55]
	;; [unrolled: 1-line block ×3, first 2 shown]
	v_fmac_f64_e32 v[14:15], -0.5, v[40:41]
	v_add_f64 v[40:41], v[72:73], -v[52:53]
	v_fma_f64 v[50:51], s[2:3], v[40:41], v[14:15]
	v_fmac_f64_e32 v[14:15], s[4:5], v[40:41]
	v_mul_f64 v[72:73], v[14:15], s[4:5]
	v_fmac_f64_e32 v[72:73], -0.5, v[12:13]
	v_add_f64 v[48:49], v[20:21], v[72:73]
	v_add_f64 v[20:21], v[20:21], -v[72:73]
	s_barrier
	scratch_load_dword v72, off, off offset:8 ; 4-byte Folded Reload
	v_add_f64 v[96:97], v[142:143], v[84:85]
	v_add_f64 v[84:85], v[142:143], -v[84:85]
	s_waitcnt vmcnt(0)
	ds_write_b128 v72, v[92:95]
	ds_write_b128 v72, v[96:99] offset:16
	ds_write_b128 v72, v[88:91] offset:32
	;; [unrolled: 1-line block ×5, first 2 shown]
	scratch_load_dword v72, off, off offset:4 ; 4-byte Folded Reload
	v_add_f64 v[34:35], v[18:19], v[136:137]
	v_add_f64 v[18:19], v[18:19], -v[136:137]
	v_mul_f64 v[54:55], v[50:51], s[4:5]
	v_mul_f64 v[74:75], v[50:51], 0.5
	v_mul_f64 v[136:137], v[14:15], -0.5
	v_fmac_f64_e32 v[54:55], 0.5, v[42:43]
	v_fmac_f64_e32 v[74:75], s[2:3], v[42:43]
	v_fmac_f64_e32 v[136:137], s[2:3], v[12:13]
	v_accvgpr_read_b32 v96, a114
	v_add_f64 v[44:45], v[100:101], v[108:109]
	v_add_f64 v[40:41], v[102:103], v[54:55]
	;; [unrolled: 1-line block ×5, first 2 shown]
	v_add_f64 v[52:53], v[100:101], -v[108:109]
	v_add_f64 v[12:13], v[102:103], -v[54:55]
	;; [unrolled: 1-line block ×5, first 2 shown]
	v_accvgpr_read_b32 v98, a116
	v_accvgpr_read_b32 v99, a117
	s_waitcnt vmcnt(0)
	ds_write_b128 v72, v[64:67]
	ds_write_b128 v72, v[68:71] offset:16
	ds_write_b128 v72, v[60:63] offset:32
	ds_write_b128 v72, v[0:3] offset:48
	ds_write_b128 v72, v[56:59] offset:64
	ds_write_b128 v72, v[4:7] offset:80
	ds_write_b128 v245, v[28:31]
	ds_write_b128 v245, v[24:27] offset:16
	ds_write_b128 v245, v[32:35] offset:32
	ds_write_b128 v245, v[36:39] offset:48
	ds_write_b128 v245, v[8:11] offset:64
	ds_write_b128 v245, v[16:19] offset:80
	;; [unrolled: 6-line block ×3, first 2 shown]
	s_waitcnt lgkmcnt(0)
	s_barrier
	ds_read_b128 v[12:15], v250
	ds_read_b128 v[92:95], v250 offset:9216
	ds_read_b128 v[88:91], v250 offset:18432
	;; [unrolled: 1-line block ×23, first 2 shown]
	v_accvgpr_read_b32 v97, a115
	s_waitcnt lgkmcnt(14)
	v_mul_f64 v[106:107], v[98:99], v[94:95]
	v_fmac_f64_e32 v[106:107], v[96:97], v[92:93]
	v_mul_f64 v[92:93], v[98:99], v[92:93]
	v_fma_f64 v[110:111], v[96:97], v[94:95], -v[92:93]
	v_accvgpr_read_b32 v92, a110
	v_accvgpr_read_b32 v94, a112
	;; [unrolled: 1-line block ×4, first 2 shown]
	v_mul_f64 v[136:137], v[94:95], v[90:91]
	v_fmac_f64_e32 v[136:137], v[92:93], v[88:89]
	v_mul_f64 v[88:89], v[94:95], v[88:89]
	v_fma_f64 v[138:139], v[92:93], v[90:91], -v[88:89]
	v_accvgpr_read_b32 v88, a106
	v_accvgpr_read_b32 v90, a108
	;; [unrolled: 1-line block ×4, first 2 shown]
	v_mul_f64 v[140:141], v[90:91], v[86:87]
	v_mul_f64 v[144:145], v[254:255], v[82:83]
	v_fmac_f64_e32 v[140:141], v[88:89], v[84:85]
	v_mul_f64 v[84:85], v[90:91], v[84:85]
	v_fmac_f64_e32 v[144:145], v[252:253], v[80:81]
	v_mul_f64 v[80:81], v[254:255], v[80:81]
	v_fma_f64 v[142:143], v[88:89], v[86:87], -v[84:85]
	v_fma_f64 v[84:85], v[252:253], v[82:83], -v[80:81]
	v_accvgpr_read_b32 v80, a102
	v_accvgpr_read_b32 v82, a104
	v_accvgpr_read_b32 v83, a105
	v_accvgpr_read_b32 v81, a103
	v_mul_f64 v[244:245], v[82:83], v[78:79]
	v_fmac_f64_e32 v[244:245], v[80:81], v[76:77]
	v_mul_f64 v[76:77], v[82:83], v[76:77]
	v_fma_f64 v[78:79], v[80:81], v[78:79], -v[76:77]
	v_accvgpr_read_b32 v80, a132
	v_accvgpr_read_b32 v82, a134
	v_accvgpr_read_b32 v83, a135
	v_accvgpr_read_b32 v81, a133
	v_mul_f64 v[96:97], v[82:83], v[74:75]
	v_fmac_f64_e32 v[96:97], v[80:81], v[72:73]
	v_mul_f64 v[72:73], v[82:83], v[72:73]
	;; [unrolled: 8-line block ×4, first 2 shown]
	v_fma_f64 v[102:103], v[68:69], v[66:67], -v[64:65]
	v_accvgpr_read_b32 v64, a122
	v_accvgpr_read_b32 v66, a124
	v_accvgpr_read_b32 v67, a125
	v_accvgpr_read_b32 v65, a123
	s_waitcnt lgkmcnt(13)
	v_mul_f64 v[254:255], v[66:67], v[62:63]
	v_fmac_f64_e32 v[254:255], v[64:65], v[60:61]
	v_mul_f64 v[60:61], v[66:67], v[60:61]
	v_fma_f64 v[252:253], v[64:65], v[62:63], -v[60:61]
	v_accvgpr_read_b32 v60, a136
	v_accvgpr_read_b32 v62, a138
	v_accvgpr_read_b32 v63, a139
	v_accvgpr_read_b32 v61, a137
	s_waitcnt lgkmcnt(12)
	v_mul_f64 v[108:109], v[62:63], v[58:59]
	v_fmac_f64_e32 v[108:109], v[60:61], v[56:57]
	v_mul_f64 v[56:57], v[62:63], v[56:57]
	;; [unrolled: 9-line block ×7, first 2 shown]
	v_fma_f64 v[64:65], v[32:33], v[26:27], -v[24:25]
	v_accvgpr_read_b32 v32, a176
	v_accvgpr_read_b32 v34, a178
	v_accvgpr_read_b32 v35, a179
	v_accvgpr_read_b32 v33, a177
	s_waitcnt lgkmcnt(4)
	v_mul_f64 v[86:87], v[34:35], v[46:47]
	v_mul_f64 v[24:25], v[34:35], v[44:45]
	v_fmac_f64_e32 v[86:87], v[32:33], v[44:45]
	v_fma_f64 v[88:89], v[32:33], v[46:47], -v[24:25]
	v_accvgpr_read_b32 v32, a168
	v_accvgpr_read_b32 v34, a170
	v_accvgpr_read_b32 v35, a171
	v_accvgpr_read_b32 v33, a169
	s_waitcnt lgkmcnt(3)
	v_mul_f64 v[82:83], v[34:35], v[38:39]
	v_mul_f64 v[24:25], v[34:35], v[36:37]
	v_fmac_f64_e32 v[82:83], v[32:33], v[36:37]
	;; [unrolled: 9-line block ×3, first 2 shown]
	v_fma_f64 v[24:25], v[32:33], v[30:31], -v[24:25]
	v_accvgpr_read_b32 v28, a156
	v_accvgpr_read_b32 v30, a158
	;; [unrolled: 1-line block ×4, first 2 shown]
	s_waitcnt lgkmcnt(1)
	v_mul_f64 v[92:93], v[30:31], v[22:23]
	v_fmac_f64_e32 v[92:93], v[28:29], v[20:21]
	v_mul_f64 v[20:21], v[30:31], v[20:21]
	v_fma_f64 v[94:95], v[28:29], v[22:23], -v[20:21]
	v_accvgpr_read_b32 v20, a144
	v_accvgpr_read_b32 v22, a146
	;; [unrolled: 1-line block ×4, first 2 shown]
	s_waitcnt lgkmcnt(0)
	v_mul_f64 v[80:81], v[22:23], v[18:19]
	v_fmac_f64_e32 v[80:81], v[20:21], v[16:17]
	v_mul_f64 v[16:17], v[22:23], v[16:17]
	v_fma_f64 v[16:17], v[20:21], v[18:19], -v[16:17]
	v_add_f64 v[20:21], v[136:137], v[144:145]
	v_add_f64 v[18:19], v[12:13], v[136:137]
	v_fmac_f64_e32 v[12:13], -0.5, v[20:21]
	v_add_f64 v[20:21], v[138:139], -v[84:85]
	v_fma_f64 v[28:29], s[4:5], v[20:21], v[12:13]
	v_fmac_f64_e32 v[12:13], s[2:3], v[20:21]
	v_add_f64 v[20:21], v[14:15], v[138:139]
	v_add_f64 v[30:31], v[20:21], v[84:85]
	v_add_f64 v[20:21], v[138:139], v[84:85]
	v_fmac_f64_e32 v[14:15], -0.5, v[20:21]
	v_add_f64 v[20:21], v[136:137], -v[144:145]
	v_fma_f64 v[36:37], s[2:3], v[20:21], v[14:15]
	v_fmac_f64_e32 v[14:15], s[4:5], v[20:21]
	v_add_f64 v[20:21], v[106:107], v[140:141]
	;; [unrolled: 7-line block ×3, first 2 shown]
	v_add_f64 v[38:39], v[20:21], v[78:79]
	v_add_f64 v[20:21], v[142:143], v[78:79]
	v_fmac_f64_e32 v[110:111], -0.5, v[20:21]
	v_add_f64 v[20:21], v[140:141], -v[244:245]
	v_fma_f64 v[42:43], s[2:3], v[20:21], v[110:111]
	v_mul_f64 v[44:45], v[42:43], s[4:5]
	v_mul_f64 v[42:43], v[42:43], 0.5
	v_fmac_f64_e32 v[42:43], s[2:3], v[34:35]
	v_add_f64 v[18:19], v[18:19], v[144:145]
	v_fmac_f64_e32 v[44:45], 0.5, v[34:35]
	v_add_f64 v[22:23], v[30:31], v[38:39]
	v_add_f64 v[138:139], v[36:37], v[42:43]
	v_add_f64 v[34:35], v[30:31], -v[38:39]
	v_add_f64 v[30:31], v[36:37], -v[42:43]
	v_add_f64 v[36:37], v[104:105], v[254:255]
	v_fmac_f64_e32 v[110:111], s[4:5], v[20:21]
	v_add_f64 v[20:21], v[18:19], v[32:33]
	v_add_f64 v[32:33], v[18:19], -v[32:33]
	v_add_f64 v[18:19], v[8:9], v[104:105]
	v_fmac_f64_e32 v[8:9], -0.5, v[36:37]
	v_add_f64 v[36:37], v[90:91], -v[252:253]
	v_fma_f64 v[42:43], s[4:5], v[36:37], v[8:9]
	v_fmac_f64_e32 v[8:9], s[2:3], v[36:37]
	v_add_f64 v[36:37], v[10:11], v[90:91]
	v_add_f64 v[50:51], v[36:37], v[252:253]
	;; [unrolled: 1-line block ×3, first 2 shown]
	v_mul_f64 v[48:49], v[110:111], -0.5
	v_fmac_f64_e32 v[10:11], -0.5, v[36:37]
	v_add_f64 v[36:37], v[104:105], -v[254:255]
	v_fmac_f64_e32 v[48:49], s[2:3], v[106:107]
	v_fma_f64 v[78:79], s[2:3], v[36:37], v[10:11]
	v_fmac_f64_e32 v[10:11], s[4:5], v[36:37]
	v_add_f64 v[36:37], v[96:97], v[100:101]
	v_add_f64 v[142:143], v[14:15], v[48:49]
	v_add_f64 v[14:15], v[14:15], -v[48:49]
	v_add_f64 v[48:49], v[36:37], v[108:109]
	v_add_f64 v[36:37], v[100:101], v[108:109]
	v_fmac_f64_e32 v[96:97], -0.5, v[36:37]
	v_add_f64 v[36:37], v[102:103], -v[58:59]
	v_fma_f64 v[38:39], s[4:5], v[36:37], v[96:97]
	v_fmac_f64_e32 v[96:97], s[2:3], v[36:37]
	v_add_f64 v[36:37], v[74:75], v[102:103]
	v_mul_f64 v[46:47], v[110:111], s[4:5]
	v_add_f64 v[54:55], v[36:37], v[58:59]
	v_add_f64 v[36:37], v[102:103], v[58:59]
	v_fmac_f64_e32 v[46:47], -0.5, v[106:107]
	v_fmac_f64_e32 v[74:75], -0.5, v[36:37]
	v_add_f64 v[36:37], v[100:101], -v[108:109]
	v_add_f64 v[140:141], v[12:13], v[46:47]
	v_add_f64 v[12:13], v[12:13], -v[46:47]
	v_fma_f64 v[46:47], s[2:3], v[36:37], v[74:75]
	v_mul_f64 v[58:59], v[46:47], s[4:5]
	v_add_f64 v[18:19], v[18:19], v[254:255]
	v_fmac_f64_e32 v[74:75], s[4:5], v[36:37]
	v_fmac_f64_e32 v[58:59], 0.5, v[38:39]
	v_add_f64 v[100:101], v[18:19], v[48:49]
	v_add_f64 v[36:37], v[42:43], v[58:59]
	v_mul_f64 v[84:85], v[74:75], s[4:5]
	v_mul_f64 v[74:75], v[74:75], -0.5
	v_add_f64 v[52:53], v[18:19], -v[48:49]
	v_add_f64 v[48:49], v[42:43], -v[58:59]
	v_add_f64 v[42:43], v[62:63], v[72:73]
	v_fmac_f64_e32 v[74:75], s[2:3], v[96:97]
	v_add_f64 v[18:19], v[4:5], v[62:63]
	v_fmac_f64_e32 v[4:5], -0.5, v[42:43]
	v_add_f64 v[42:43], v[70:71], -v[98:99]
	v_add_f64 v[58:59], v[70:71], v[98:99]
	v_mul_f64 v[90:91], v[46:47], 0.5
	v_add_f64 v[46:47], v[10:11], v[74:75]
	v_add_f64 v[10:11], v[10:11], -v[74:75]
	v_fma_f64 v[74:75], s[4:5], v[42:43], v[4:5]
	v_fmac_f64_e32 v[4:5], s[2:3], v[42:43]
	v_add_f64 v[42:43], v[6:7], v[70:71]
	v_fmac_f64_e32 v[6:7], -0.5, v[58:59]
	v_add_f64 v[58:59], v[62:63], -v[72:73]
	v_fma_f64 v[70:71], s[2:3], v[58:59], v[6:7]
	v_fmac_f64_e32 v[6:7], s[4:5], v[58:59]
	v_add_f64 v[58:59], v[66:67], v[56:57]
	v_add_f64 v[18:19], v[18:19], v[72:73]
	;; [unrolled: 1-line block ×4, first 2 shown]
	v_fmac_f64_e32 v[90:91], s[2:3], v[38:39]
	v_fmac_f64_e32 v[66:67], -0.5, v[58:59]
	v_add_f64 v[58:59], v[40:41], -v[64:65]
	v_add_f64 v[102:103], v[50:51], v[54:55]
	v_add_f64 v[38:39], v[78:79], v[90:91]
	v_add_f64 v[54:55], v[50:51], -v[54:55]
	v_add_f64 v[50:51], v[78:79], -v[90:91]
	v_fma_f64 v[78:79], s[4:5], v[58:59], v[66:67]
	v_fmac_f64_e32 v[66:67], s[2:3], v[58:59]
	v_add_f64 v[58:59], v[68:69], v[40:41]
	v_add_f64 v[40:41], v[40:41], v[64:65]
	v_fmac_f64_e32 v[84:85], -0.5, v[96:97]
	v_fmac_f64_e32 v[68:69], -0.5, v[40:41]
	v_add_f64 v[40:41], v[56:57], -v[60:61]
	v_add_f64 v[136:137], v[28:29], v[44:45]
	v_add_f64 v[28:29], v[28:29], -v[44:45]
	v_add_f64 v[44:45], v[8:9], v[84:85]
	;; [unrolled: 2-line block ×3, first 2 shown]
	v_fma_f64 v[58:59], s[2:3], v[40:41], v[68:69]
	v_fmac_f64_e32 v[68:69], s[4:5], v[40:41]
	v_mul_f64 v[40:41], v[58:59], s[4:5]
	v_fmac_f64_e32 v[40:41], 0.5, v[78:79]
	v_mul_f64 v[96:97], v[58:59], 0.5
	v_add_f64 v[56:57], v[74:75], v[40:41]
	v_mul_f64 v[90:91], v[68:69], s[4:5]
	v_fmac_f64_e32 v[96:97], s[2:3], v[78:79]
	v_mul_f64 v[78:79], v[68:69], -0.5
	v_add_f64 v[68:69], v[74:75], -v[40:41]
	v_add_f64 v[40:41], v[82:83], v[92:93]
	v_add_f64 v[42:43], v[42:43], v[98:99]
	;; [unrolled: 1-line block ×3, first 2 shown]
	v_add_f64 v[72:73], v[18:19], -v[72:73]
	v_add_f64 v[18:19], v[0:1], v[82:83]
	v_fmac_f64_e32 v[0:1], -0.5, v[40:41]
	v_add_f64 v[40:41], v[26:27], -v[94:95]
	v_add_f64 v[62:63], v[42:43], v[84:85]
	v_fmac_f64_e32 v[78:79], s[2:3], v[66:67]
	v_add_f64 v[74:75], v[42:43], -v[84:85]
	v_fma_f64 v[42:43], s[4:5], v[40:41], v[0:1]
	v_fmac_f64_e32 v[0:1], s[2:3], v[40:41]
	v_add_f64 v[40:41], v[2:3], v[26:27]
	v_add_f64 v[26:27], v[26:27], v[94:95]
	v_fmac_f64_e32 v[90:91], -0.5, v[66:67]
	v_add_f64 v[66:67], v[6:7], v[78:79]
	v_add_f64 v[6:7], v[6:7], -v[78:79]
	v_fmac_f64_e32 v[2:3], -0.5, v[26:27]
	v_add_f64 v[26:27], v[82:83], -v[92:93]
	v_add_f64 v[78:79], v[76:77], v[80:81]
	v_add_f64 v[64:65], v[4:5], v[90:91]
	v_add_f64 v[4:5], v[4:5], -v[90:91]
	v_fma_f64 v[90:91], s[2:3], v[26:27], v[2:3]
	v_fmac_f64_e32 v[2:3], s[4:5], v[26:27]
	v_add_f64 v[26:27], v[86:87], v[76:77]
	v_fmac_f64_e32 v[86:87], -0.5, v[78:79]
	v_add_f64 v[78:79], v[24:25], -v[16:17]
	v_add_f64 v[18:19], v[18:19], v[92:93]
	v_fma_f64 v[92:93], s[4:5], v[78:79], v[86:87]
	v_fmac_f64_e32 v[86:87], s[2:3], v[78:79]
	v_add_f64 v[78:79], v[88:89], v[24:25]
	v_add_f64 v[40:41], v[40:41], v[94:95]
	v_add_f64 v[94:95], v[78:79], v[16:17]
	v_add_f64 v[16:17], v[24:25], v[16:17]
	v_fmac_f64_e32 v[88:89], -0.5, v[16:17]
	v_add_f64 v[16:17], v[76:77], -v[80:81]
	v_fma_f64 v[24:25], s[2:3], v[16:17], v[88:89]
	v_fmac_f64_e32 v[88:89], s[4:5], v[16:17]
	v_mul_f64 v[16:17], v[24:25], s[4:5]
	v_fmac_f64_e32 v[16:17], 0.5, v[92:93]
	v_add_f64 v[58:59], v[70:71], v[96:97]
	v_add_f64 v[70:71], v[70:71], -v[96:97]
	v_add_f64 v[76:77], v[42:43], v[16:17]
	v_mul_f64 v[96:97], v[88:89], s[4:5]
	v_mul_f64 v[98:99], v[88:89], -0.5
	v_add_f64 v[88:89], v[42:43], -v[16:17]
	s_barrier
	scratch_load_dword v16, off, off offset:128 ; 4-byte Folded Reload
	s_waitcnt vmcnt(0)
	ds_write_b128 v16, v[20:23]
	ds_write_b128 v16, v[136:139] offset:96
	ds_write_b128 v16, v[140:143] offset:192
	ds_write_b128 v16, v[32:35] offset:288
	ds_write_b128 v16, v[28:31] offset:384
	ds_write_b128 v16, v[12:15] offset:480
	scratch_load_dword v12, off, off offset:88 ; 4-byte Folded Reload
	s_waitcnt vmcnt(0)
	ds_write_b128 v12, v[100:103]
	ds_write_b128 v12, v[36:39] offset:96
	ds_write_b128 v12, v[44:47] offset:192
	ds_write_b128 v12, v[52:55] offset:288
	ds_write_b128 v12, v[48:51] offset:384
	ds_write_b128 v12, v[8:11] offset:480
	;; [unrolled: 8-line block ×3, first 2 shown]
	scratch_load_dword v4, off, off offset:32 ; 4-byte Folded Reload
	v_fmac_f64_e32 v[96:97], -0.5, v[86:87]
	v_mul_f64 v[24:25], v[24:25], 0.5
	v_fmac_f64_e32 v[98:99], s[2:3], v[86:87]
	v_add_f64 v[26:27], v[26:27], v[80:81]
	v_add_f64 v[84:85], v[0:1], v[96:97]
	v_fmac_f64_e32 v[24:25], s[2:3], v[92:93]
	v_add_f64 v[86:87], v[2:3], v[98:99]
	v_add_f64 v[0:1], v[0:1], -v[96:97]
	v_add_f64 v[2:3], v[2:3], -v[98:99]
	v_accvgpr_read_b32 v96, a194
	v_add_f64 v[80:81], v[18:19], v[26:27]
	v_add_f64 v[82:83], v[40:41], v[94:95]
	v_add_f64 v[78:79], v[90:91], v[24:25]
	v_add_f64 v[92:93], v[18:19], -v[26:27]
	v_add_f64 v[94:95], v[40:41], -v[94:95]
	;; [unrolled: 1-line block ×3, first 2 shown]
	v_accvgpr_read_b32 v98, a196
	v_accvgpr_read_b32 v99, a197
	s_waitcnt vmcnt(0)
	ds_write_b128 v4, v[80:83]
	ds_write_b128 v4, v[76:79] offset:96
	ds_write_b128 v4, v[84:87] offset:192
	;; [unrolled: 1-line block ×5, first 2 shown]
	s_waitcnt lgkmcnt(0)
	s_barrier
	ds_read_b128 v[12:15], v250
	ds_read_b128 v[92:95], v250 offset:9216
	ds_read_b128 v[88:91], v250 offset:18432
	;; [unrolled: 1-line block ×23, first 2 shown]
	v_accvgpr_read_b32 v97, a195
	s_waitcnt lgkmcnt(14)
	v_mul_f64 v[106:107], v[98:99], v[94:95]
	v_fmac_f64_e32 v[106:107], v[96:97], v[92:93]
	v_mul_f64 v[92:93], v[98:99], v[92:93]
	v_fma_f64 v[110:111], v[96:97], v[94:95], -v[92:93]
	v_accvgpr_read_b32 v92, a198
	v_accvgpr_read_b32 v94, a200
	v_accvgpr_read_b32 v95, a201
	v_accvgpr_read_b32 v93, a199
	v_mul_f64 v[136:137], v[94:95], v[90:91]
	v_fmac_f64_e32 v[136:137], v[92:93], v[88:89]
	v_mul_f64 v[88:89], v[94:95], v[88:89]
	v_fma_f64 v[138:139], v[92:93], v[90:91], -v[88:89]
	v_accvgpr_read_b32 v88, a190
	v_accvgpr_read_b32 v90, a192
	v_accvgpr_read_b32 v91, a193
	v_accvgpr_read_b32 v89, a191
	v_mul_f64 v[140:141], v[90:91], v[86:87]
	v_fmac_f64_e32 v[140:141], v[88:89], v[84:85]
	v_mul_f64 v[84:85], v[90:91], v[84:85]
	v_fma_f64 v[142:143], v[88:89], v[86:87], -v[84:85]
	v_accvgpr_read_b32 v84, a186
	v_accvgpr_read_b32 v86, a188
	v_accvgpr_read_b32 v87, a189
	v_accvgpr_read_b32 v85, a187
	v_mul_f64 v[144:145], v[86:87], v[82:83]
	v_fmac_f64_e32 v[144:145], v[84:85], v[80:81]
	v_mul_f64 v[80:81], v[86:87], v[80:81]
	v_fma_f64 v[244:245], v[84:85], v[82:83], -v[80:81]
	v_accvgpr_read_b32 v80, a182
	v_accvgpr_read_b32 v82, a184
	v_accvgpr_read_b32 v83, a185
	v_accvgpr_read_b32 v81, a183
	v_mul_f64 v[252:253], v[82:83], v[78:79]
	v_fmac_f64_e32 v[252:253], v[80:81], v[76:77]
	v_mul_f64 v[76:77], v[82:83], v[76:77]
	v_fma_f64 v[254:255], v[80:81], v[78:79], -v[76:77]
	v_accvgpr_read_b32 v79, a23
	v_accvgpr_read_b32 v78, a22
	v_accvgpr_read_b32 v77, a21
	v_accvgpr_read_b32 v76, a20
	v_mul_f64 v[96:97], v[78:79], v[74:75]
	v_fmac_f64_e32 v[96:97], v[76:77], v[72:73]
	v_mul_f64 v[72:73], v[78:79], v[72:73]
	v_fma_f64 v[74:75], v[76:77], v[74:75], -v[72:73]
	v_accvgpr_read_b32 v76, a240
	v_accvgpr_read_b32 v78, a242
	v_accvgpr_read_b32 v79, a243
	v_accvgpr_read_b32 v77, a241
	v_mul_f64 v[104:105], v[78:79], v[70:71]
	v_fmac_f64_e32 v[104:105], v[76:77], v[68:69]
	v_mul_f64 v[68:69], v[78:79], v[68:69]
	v_fma_f64 v[70:71], v[76:77], v[70:71], -v[68:69]
	v_accvgpr_read_b32 v76, a252
	v_accvgpr_read_b32 v78, a254
	v_accvgpr_read_b32 v79, a255
	v_accvgpr_read_b32 v77, a253
	v_mul_f64 v[100:101], v[78:79], v[66:67]
	v_fmac_f64_e32 v[100:101], v[76:77], v[64:65]
	v_mul_f64 v[64:65], v[78:79], v[64:65]
	v_fma_f64 v[102:103], v[76:77], v[66:67], -v[64:65]
	v_accvgpr_read_b32 v64, a224
	v_accvgpr_read_b32 v66, a226
	v_accvgpr_read_b32 v67, a227
	v_accvgpr_read_b32 v65, a225
	s_waitcnt lgkmcnt(13)
	v_mul_f64 v[78:79], v[66:67], v[62:63]
	v_fmac_f64_e32 v[78:79], v[64:65], v[60:61]
	v_mul_f64 v[60:61], v[66:67], v[60:61]
	v_fma_f64 v[64:65], v[64:65], v[62:63], -v[60:61]
	v_accvgpr_read_b32 v60, a204
	v_accvgpr_read_b32 v62, a206
	v_accvgpr_read_b32 v63, a207
	v_accvgpr_read_b32 v61, a205
	s_waitcnt lgkmcnt(12)
	v_mul_f64 v[108:109], v[62:63], v[58:59]
	v_fmac_f64_e32 v[108:109], v[60:61], v[56:57]
	v_mul_f64 v[56:57], v[62:63], v[56:57]
	v_fma_f64 v[84:85], v[60:61], v[58:59], -v[56:57]
	v_accvgpr_read_b32 v56, a248
	v_accvgpr_read_b32 v58, a250
	v_accvgpr_read_b32 v59, a251
	v_accvgpr_read_b32 v57, a249
	;; [unrolled: 9-line block ×7, first 2 shown]
	s_waitcnt lgkmcnt(4)
	v_mul_f64 v[86:87], v[34:35], v[46:47]
	v_mul_f64 v[26:27], v[34:35], v[44:45]
	v_fmac_f64_e32 v[86:87], v[32:33], v[44:45]
	v_fma_f64 v[88:89], v[32:33], v[46:47], -v[26:27]
	v_accvgpr_read_b32 v32, a244
	v_accvgpr_read_b32 v34, a246
	v_accvgpr_read_b32 v35, a247
	v_accvgpr_read_b32 v33, a245
	s_waitcnt lgkmcnt(3)
	v_mul_f64 v[82:83], v[34:35], v[38:39]
	v_mul_f64 v[26:27], v[34:35], v[36:37]
	v_fmac_f64_e32 v[82:83], v[32:33], v[36:37]
	v_fma_f64 v[90:91], v[32:33], v[38:39], -v[26:27]
	v_accvgpr_read_b32 v32, a232
	v_accvgpr_read_b32 v34, a234
	v_accvgpr_read_b32 v35, a235
	v_accvgpr_read_b32 v33, a233
	;; [unrolled: 9-line block ×3, first 2 shown]
	s_waitcnt lgkmcnt(1)
	v_mul_f64 v[92:93], v[28:29], v[22:23]
	v_fmac_f64_e32 v[92:93], v[26:27], v[20:21]
	v_mul_f64 v[20:21], v[28:29], v[20:21]
	v_fma_f64 v[94:95], v[26:27], v[22:23], -v[20:21]
	v_accvgpr_read_b32 v20, a212
	v_accvgpr_read_b32 v22, a214
	;; [unrolled: 1-line block ×4, first 2 shown]
	s_waitcnt lgkmcnt(0)
	v_mul_f64 v[80:81], v[22:23], v[18:19]
	v_fmac_f64_e32 v[80:81], v[20:21], v[16:17]
	v_mul_f64 v[16:17], v[22:23], v[16:17]
	v_fma_f64 v[26:27], v[20:21], v[18:19], -v[16:17]
	v_add_f64 v[16:17], v[12:13], v[136:137]
	v_add_f64 v[28:29], v[16:17], v[144:145]
	v_add_f64 v[16:17], v[136:137], v[144:145]
	v_fmac_f64_e32 v[12:13], -0.5, v[16:17]
	v_add_f64 v[16:17], v[138:139], -v[244:245]
	v_fma_f64 v[30:31], s[4:5], v[16:17], v[12:13]
	v_fmac_f64_e32 v[12:13], s[2:3], v[16:17]
	v_add_f64 v[16:17], v[14:15], v[138:139]
	v_add_f64 v[34:35], v[16:17], v[244:245]
	v_add_f64 v[16:17], v[138:139], v[244:245]
	v_fmac_f64_e32 v[14:15], -0.5, v[16:17]
	v_add_f64 v[16:17], v[136:137], -v[144:145]
	v_fma_f64 v[36:37], s[2:3], v[16:17], v[14:15]
	v_fmac_f64_e32 v[14:15], s[4:5], v[16:17]
	v_add_f64 v[16:17], v[106:107], v[140:141]
	v_add_f64 v[32:33], v[16:17], v[252:253]
	v_add_f64 v[16:17], v[140:141], v[252:253]
	v_fmac_f64_e32 v[106:107], -0.5, v[16:17]
	v_add_f64 v[16:17], v[142:143], -v[254:255]
	v_fma_f64 v[18:19], s[4:5], v[16:17], v[106:107]
	v_fmac_f64_e32 v[106:107], s[2:3], v[16:17]
	v_add_f64 v[16:17], v[110:111], v[142:143]
	v_add_f64 v[38:39], v[16:17], v[254:255]
	;; [unrolled: 1-line block ×3, first 2 shown]
	v_fmac_f64_e32 v[110:111], -0.5, v[16:17]
	v_add_f64 v[16:17], v[140:141], -v[252:253]
	v_fma_f64 v[40:41], s[2:3], v[16:17], v[110:111]
	v_mul_f64 v[42:43], v[40:41], s[4:5]
	v_mul_f64 v[40:41], v[40:41], 0.5
	v_fmac_f64_e32 v[42:43], 0.5, v[18:19]
	v_fmac_f64_e32 v[40:41], s[2:3], v[18:19]
	v_fmac_f64_e32 v[110:111], s[4:5], v[16:17]
	v_add_f64 v[20:21], v[28:29], v[32:33]
	v_add_f64 v[16:17], v[30:31], v[42:43]
	;; [unrolled: 1-line block ×3, first 2 shown]
	v_add_f64 v[32:33], v[28:29], -v[32:33]
	v_add_f64 v[28:29], v[30:31], -v[42:43]
	;; [unrolled: 1-line block ×3, first 2 shown]
	v_add_f64 v[36:37], v[8:9], v[104:105]
	v_add_f64 v[52:53], v[36:37], v[78:79]
	;; [unrolled: 1-line block ×3, first 2 shown]
	v_fmac_f64_e32 v[8:9], -0.5, v[36:37]
	v_add_f64 v[36:37], v[70:71], -v[64:65]
	v_mul_f64 v[44:45], v[110:111], s[4:5]
	v_mul_f64 v[46:47], v[110:111], -0.5
	v_fma_f64 v[54:55], s[4:5], v[36:37], v[8:9]
	v_fmac_f64_e32 v[8:9], s[2:3], v[36:37]
	v_add_f64 v[36:37], v[10:11], v[70:71]
	v_fmac_f64_e32 v[44:45], -0.5, v[106:107]
	v_fmac_f64_e32 v[46:47], s[2:3], v[106:107]
	v_add_f64 v[106:107], v[36:37], v[64:65]
	v_add_f64 v[36:37], v[70:71], v[64:65]
	v_fmac_f64_e32 v[10:11], -0.5, v[36:37]
	v_add_f64 v[36:37], v[104:105], -v[78:79]
	v_fma_f64 v[64:65], s[2:3], v[36:37], v[10:11]
	v_fmac_f64_e32 v[10:11], s[4:5], v[36:37]
	v_add_f64 v[36:37], v[96:97], v[100:101]
	v_add_f64 v[70:71], v[36:37], v[108:109]
	v_add_f64 v[36:37], v[100:101], v[108:109]
	v_fmac_f64_e32 v[96:97], -0.5, v[36:37]
	v_add_f64 v[36:37], v[102:103], -v[84:85]
	v_add_f64 v[22:23], v[34:35], v[38:39]
	v_add_f64 v[34:35], v[34:35], -v[38:39]
	v_fma_f64 v[38:39], s[4:5], v[36:37], v[96:97]
	v_fmac_f64_e32 v[96:97], s[2:3], v[36:37]
	v_add_f64 v[36:37], v[74:75], v[102:103]
	v_add_f64 v[78:79], v[36:37], v[84:85]
	;; [unrolled: 1-line block ×3, first 2 shown]
	v_fmac_f64_e32 v[74:75], -0.5, v[36:37]
	v_add_f64 v[36:37], v[100:101], -v[108:109]
	v_add_f64 v[138:139], v[14:15], v[46:47]
	v_add_f64 v[14:15], v[14:15], -v[46:47]
	v_fma_f64 v[46:47], s[2:3], v[36:37], v[74:75]
	v_fmac_f64_e32 v[74:75], s[4:5], v[36:37]
	v_mul_f64 v[102:103], v[74:75], s[4:5]
	v_mul_f64 v[104:105], v[46:47], 0.5
	v_mul_f64 v[84:85], v[46:47], s[4:5]
	v_fmac_f64_e32 v[102:103], -0.5, v[96:97]
	v_fmac_f64_e32 v[104:105], s[2:3], v[38:39]
	v_add_f64 v[136:137], v[12:13], v[44:45]
	v_add_f64 v[12:13], v[12:13], -v[44:45]
	v_fmac_f64_e32 v[84:85], 0.5, v[38:39]
	v_add_f64 v[44:45], v[8:9], v[102:103]
	v_add_f64 v[38:39], v[64:65], v[104:105]
	v_add_f64 v[8:9], v[8:9], -v[102:103]
	v_add_f64 v[102:103], v[64:65], -v[104:105]
	v_add_f64 v[64:65], v[4:5], v[62:63]
	v_add_f64 v[40:41], v[52:53], v[70:71]
	v_mul_f64 v[74:75], v[74:75], -0.5
	v_add_f64 v[52:53], v[52:53], -v[70:71]
	v_add_f64 v[70:71], v[64:65], v[72:73]
	v_add_f64 v[64:65], v[62:63], v[72:73]
	v_fmac_f64_e32 v[74:75], s[2:3], v[96:97]
	v_fmac_f64_e32 v[4:5], -0.5, v[64:65]
	v_add_f64 v[64:65], v[48:49], -v[98:99]
	v_add_f64 v[46:47], v[10:11], v[74:75]
	v_add_f64 v[10:11], v[10:11], -v[74:75]
	v_fma_f64 v[74:75], s[4:5], v[64:65], v[4:5]
	v_fmac_f64_e32 v[4:5], s[2:3], v[64:65]
	v_add_f64 v[64:65], v[6:7], v[48:49]
	v_add_f64 v[48:49], v[48:49], v[98:99]
	v_fmac_f64_e32 v[6:7], -0.5, v[48:49]
	v_add_f64 v[48:49], v[62:63], -v[72:73]
	v_add_f64 v[62:63], v[56:57], v[60:61]
	v_add_f64 v[36:37], v[54:55], v[84:85]
	v_add_f64 v[100:101], v[54:55], -v[84:85]
	v_fma_f64 v[84:85], s[2:3], v[48:49], v[6:7]
	v_fmac_f64_e32 v[6:7], s[4:5], v[48:49]
	v_add_f64 v[48:49], v[66:67], v[56:57]
	v_fmac_f64_e32 v[66:67], -0.5, v[62:63]
	v_add_f64 v[62:63], v[58:59], -v[24:25]
	v_fma_f64 v[72:73], s[4:5], v[62:63], v[66:67]
	v_fmac_f64_e32 v[66:67], s[2:3], v[62:63]
	v_add_f64 v[62:63], v[68:69], v[58:59]
	v_add_f64 v[96:97], v[62:63], v[24:25]
	;; [unrolled: 1-line block ×3, first 2 shown]
	v_fmac_f64_e32 v[68:69], -0.5, v[24:25]
	v_add_f64 v[24:25], v[56:57], -v[60:61]
	v_fma_f64 v[58:59], s[2:3], v[24:25], v[68:69]
	v_fmac_f64_e32 v[68:69], s[4:5], v[24:25]
	v_add_f64 v[42:43], v[106:107], v[78:79]
	v_add_f64 v[54:55], v[106:107], -v[78:79]
	v_add_f64 v[78:79], v[64:65], v[98:99]
	v_add_f64 v[48:49], v[48:49], v[60:61]
	v_mul_f64 v[24:25], v[58:59], s[4:5]
	v_mul_f64 v[98:99], v[68:69], s[4:5]
	v_mul_f64 v[104:105], v[58:59], 0.5
	v_mul_f64 v[106:107], v[68:69], -0.5
	s_barrier
	ds_write_b128 v147, v[20:23]
	ds_write_b128 v147, v[16:19] offset:576
	ds_write_b128 v147, v[136:139] offset:1152
	;; [unrolled: 1-line block ×5, first 2 shown]
	v_accvgpr_read_b32 v12, a180
	v_add_f64 v[60:61], v[70:71], v[48:49]
	v_fmac_f64_e32 v[24:25], 0.5, v[72:73]
	v_fmac_f64_e32 v[98:99], -0.5, v[66:67]
	v_add_f64 v[62:63], v[78:79], v[96:97]
	v_fmac_f64_e32 v[104:105], s[2:3], v[72:73]
	v_fmac_f64_e32 v[106:107], s[2:3], v[66:67]
	ds_write_b128 v12, v[40:43]
	ds_write_b128 v12, v[36:39] offset:576
	ds_write_b128 v12, v[44:47] offset:1152
	;; [unrolled: 1-line block ×5, first 2 shown]
	v_accvgpr_read_b32 v8, a181
	v_add_f64 v[56:57], v[74:75], v[24:25]
	v_add_f64 v[64:65], v[4:5], v[98:99]
	;; [unrolled: 1-line block ×4, first 2 shown]
	v_add_f64 v[72:73], v[70:71], -v[48:49]
	v_add_f64 v[68:69], v[74:75], -v[24:25]
	;; [unrolled: 1-line block ×6, first 2 shown]
	ds_write_b128 v8, v[60:63]
	ds_write_b128 v8, v[56:59] offset:576
	ds_write_b128 v8, v[64:67] offset:1152
	;; [unrolled: 1-line block ×5, first 2 shown]
	scratch_load_dword v4, off, off offset:124 ; 4-byte Folded Reload
	v_add_f64 v[48:49], v[82:83], v[92:93]
	v_add_f64 v[24:25], v[0:1], v[82:83]
	v_fmac_f64_e32 v[0:1], -0.5, v[48:49]
	v_add_f64 v[48:49], v[90:91], -v[94:95]
	v_add_f64 v[78:79], v[90:91], v[94:95]
	v_fma_f64 v[96:97], s[4:5], v[48:49], v[0:1]
	v_fmac_f64_e32 v[0:1], s[2:3], v[48:49]
	v_add_f64 v[48:49], v[2:3], v[90:91]
	v_fmac_f64_e32 v[2:3], -0.5, v[78:79]
	v_add_f64 v[78:79], v[82:83], -v[92:93]
	v_fma_f64 v[90:91], s[2:3], v[78:79], v[2:3]
	v_fmac_f64_e32 v[2:3], s[4:5], v[78:79]
	v_add_f64 v[78:79], v[86:87], v[76:77]
	v_add_f64 v[24:25], v[24:25], v[92:93]
	v_add_f64 v[92:93], v[78:79], v[80:81]
	v_add_f64 v[78:79], v[76:77], v[80:81]
	v_fmac_f64_e32 v[86:87], -0.5, v[78:79]
	v_add_f64 v[78:79], v[50:51], -v[26:27]
	v_add_f64 v[48:49], v[48:49], v[94:95]
	v_fma_f64 v[94:95], s[4:5], v[78:79], v[86:87]
	v_fmac_f64_e32 v[86:87], s[2:3], v[78:79]
	v_add_f64 v[78:79], v[88:89], v[50:51]
	v_add_f64 v[98:99], v[78:79], v[26:27]
	;; [unrolled: 1-line block ×3, first 2 shown]
	v_fmac_f64_e32 v[88:89], -0.5, v[26:27]
	v_add_f64 v[26:27], v[76:77], -v[80:81]
	v_fma_f64 v[50:51], s[2:3], v[26:27], v[88:89]
	v_fmac_f64_e32 v[88:89], s[4:5], v[26:27]
	v_mul_f64 v[26:27], v[50:51], s[4:5]
	v_mul_f64 v[104:105], v[88:89], s[4:5]
	v_mul_f64 v[50:51], v[50:51], 0.5
	v_mul_f64 v[106:107], v[88:89], -0.5
	v_fmac_f64_e32 v[26:27], 0.5, v[94:95]
	v_fmac_f64_e32 v[104:105], -0.5, v[86:87]
	v_add_f64 v[82:83], v[48:49], v[98:99]
	v_fmac_f64_e32 v[50:51], s[2:3], v[94:95]
	v_fmac_f64_e32 v[106:107], s[2:3], v[86:87]
	v_add_f64 v[94:95], v[48:49], -v[98:99]
	v_accvgpr_read_b32 v101, a15
	v_add_f64 v[80:81], v[24:25], v[92:93]
	v_add_f64 v[76:77], v[96:97], v[26:27]
	;; [unrolled: 1-line block ×5, first 2 shown]
	v_add_f64 v[92:93], v[24:25], -v[92:93]
	v_add_f64 v[88:89], v[96:97], -v[26:27]
	;; [unrolled: 1-line block ×5, first 2 shown]
	v_accvgpr_read_b32 v100, a14
	s_waitcnt vmcnt(0)
	ds_write_b128 v4, v[80:83]
	ds_write_b128 v4, v[76:79] offset:576
	ds_write_b128 v4, v[84:87] offset:1152
	;; [unrolled: 1-line block ×5, first 2 shown]
	s_waitcnt lgkmcnt(0)
	s_barrier
	ds_read_b128 v[20:23], v250
	ds_read_b128 v[92:95], v250 offset:13824
	ds_read_b128 v[88:91], v250 offset:27648
	;; [unrolled: 1-line block ×23, first 2 shown]
	v_accvgpr_read_b32 v99, a13
	v_accvgpr_read_b32 v98, a12
	s_waitcnt lgkmcnt(14)
	v_mul_f64 v[96:97], v[100:101], v[94:95]
	v_fmac_f64_e32 v[96:97], v[98:99], v[92:93]
	v_mul_f64 v[92:93], v[100:101], v[92:93]
	v_fma_f64 v[92:93], v[98:99], v[94:95], -v[92:93]
	v_accvgpr_read_b32 v101, a11
	s_waitcnt lgkmcnt(9)
	v_mul_f64 v[142:143], v[226:227], v[54:55]
	v_accvgpr_read_b32 v100, a10
	v_fmac_f64_e32 v[142:143], v[224:225], v[52:53]
	v_mul_f64 v[52:53], v[226:227], v[52:53]
	v_accvgpr_read_b32 v99, a9
	v_accvgpr_read_b32 v98, a8
	v_mul_f64 v[94:95], v[100:101], v[90:91]
	v_fma_f64 v[52:53], v[224:225], v[54:55], -v[52:53]
	s_waitcnt lgkmcnt(8)
	v_mul_f64 v[54:55], v[230:231], v[46:47]
	v_fmac_f64_e32 v[94:95], v[98:99], v[88:89]
	v_mul_f64 v[88:89], v[100:101], v[88:89]
	v_fmac_f64_e32 v[54:55], v[228:229], v[44:45]
	v_mul_f64 v[44:45], v[230:231], v[44:45]
	v_fma_f64 v[88:89], v[98:99], v[90:91], -v[88:89]
	v_accvgpr_read_b32 v101, a19
	v_fma_f64 v[44:45], v[228:229], v[46:47], -v[44:45]
	s_waitcnt lgkmcnt(6)
	v_mul_f64 v[46:47], v[210:211], v[42:43]
	v_accvgpr_read_b32 v100, a18
	v_fmac_f64_e32 v[46:47], v[208:209], v[40:41]
	v_mul_f64 v[40:41], v[210:211], v[40:41]
	v_accvgpr_read_b32 v99, a17
	v_accvgpr_read_b32 v98, a16
	v_mul_f64 v[90:91], v[100:101], v[86:87]
	v_fma_f64 v[40:41], v[208:209], v[42:43], -v[40:41]
	s_waitcnt lgkmcnt(5)
	v_mul_f64 v[42:43], v[214:215], v[34:35]
	v_fmac_f64_e32 v[90:91], v[98:99], v[84:85]
	v_mul_f64 v[84:85], v[100:101], v[84:85]
	v_fmac_f64_e32 v[42:43], v[212:213], v[32:33]
	v_mul_f64 v[32:33], v[214:215], v[32:33]
	v_fma_f64 v[84:85], v[98:99], v[86:87], -v[84:85]
	v_mul_f64 v[98:99], v[248:249], v[82:83]
	v_fma_f64 v[32:33], v[212:213], v[34:35], -v[32:33]
	s_waitcnt lgkmcnt(4)
	v_mul_f64 v[34:35], v[218:219], v[26:27]
	v_fmac_f64_e32 v[98:99], v[246:247], v[80:81]
	v_mul_f64 v[80:81], v[248:249], v[80:81]
	v_fmac_f64_e32 v[34:35], v[216:217], v[24:25]
	v_mul_f64 v[24:25], v[218:219], v[24:25]
	v_fma_f64 v[100:101], v[246:247], v[82:83], -v[80:81]
	v_accvgpr_read_b32 v83, a7
	v_fma_f64 v[24:25], v[216:217], v[26:27], -v[24:25]
	s_waitcnt lgkmcnt(2)
	v_mul_f64 v[26:27], v[198:199], v[50:51]
	v_accvgpr_read_b32 v82, a6
	v_fmac_f64_e32 v[26:27], v[196:197], v[48:49]
	v_mul_f64 v[48:49], v[198:199], v[48:49]
	v_accvgpr_read_b32 v81, a5
	v_accvgpr_read_b32 v80, a4
	v_mul_f64 v[102:103], v[82:83], v[78:79]
	v_fma_f64 v[144:145], v[196:197], v[50:51], -v[48:49]
	s_waitcnt lgkmcnt(1)
	v_mul_f64 v[196:197], v[202:203], v[38:39]
	v_fmac_f64_e32 v[102:103], v[80:81], v[76:77]
	v_mul_f64 v[76:77], v[82:83], v[76:77]
	v_fmac_f64_e32 v[196:197], v[200:201], v[36:37]
	v_mul_f64 v[36:37], v[202:203], v[36:37]
	v_fma_f64 v[76:77], v[80:81], v[78:79], -v[76:77]
	v_accvgpr_read_b32 v83, a3
	v_fma_f64 v[198:199], v[200:201], v[38:39], -v[36:37]
	s_waitcnt lgkmcnt(0)
	v_mul_f64 v[200:201], v[206:207], v[30:31]
	v_accvgpr_read_b32 v82, a2
	v_fmac_f64_e32 v[200:201], v[204:205], v[28:29]
	v_mul_f64 v[28:29], v[206:207], v[28:29]
	v_accvgpr_read_b32 v81, a1
	v_accvgpr_read_b32 v80, a0
	v_mul_f64 v[78:79], v[82:83], v[74:75]
	v_fma_f64 v[202:203], v[204:205], v[30:31], -v[28:29]
	v_add_f64 v[28:29], v[20:21], -v[94:95]
	v_add_f64 v[30:31], v[22:23], -v[88:89]
	;; [unrolled: 1-line block ×4, first 2 shown]
	v_fmac_f64_e32 v[78:79], v[80:81], v[72:73]
	v_mul_f64 v[72:73], v[82:83], v[72:73]
	v_fma_f64 v[20:21], v[20:21], 2.0, -v[28:29]
	v_fma_f64 v[22:23], v[22:23], 2.0, -v[30:31]
	;; [unrolled: 1-line block ×4, first 2 shown]
	v_fma_f64 v[72:73], v[80:81], v[74:75], -v[72:73]
	v_add_f64 v[80:81], v[20:21], -v[48:49]
	v_add_f64 v[82:83], v[22:23], -v[50:51]
	v_add_f64 v[84:85], v[28:29], v[38:39]
	v_add_f64 v[86:87], v[30:31], -v[36:37]
	v_mul_f64 v[104:105], v[234:235], v[70:71]
	v_mul_f64 v[108:109], v[238:239], v[66:67]
	;; [unrolled: 1-line block ×3, first 2 shown]
	v_fma_f64 v[92:93], v[20:21], 2.0, -v[80:81]
	v_fma_f64 v[94:95], v[22:23], 2.0, -v[82:83]
	;; [unrolled: 1-line block ×4, first 2 shown]
	v_add_f64 v[20:21], v[16:17], -v[102:103]
	v_add_f64 v[22:23], v[18:19], -v[76:77]
	;; [unrolled: 1-line block ×4, first 2 shown]
	v_fmac_f64_e32 v[104:105], v[232:233], v[68:69]
	v_mul_f64 v[68:69], v[234:235], v[68:69]
	v_fmac_f64_e32 v[108:109], v[236:237], v[64:65]
	v_mul_f64 v[64:65], v[238:239], v[64:65]
	;; [unrolled: 2-line block ×3, first 2 shown]
	v_fma_f64 v[16:17], v[16:17], 2.0, -v[20:21]
	v_fma_f64 v[18:19], v[18:19], 2.0, -v[22:23]
	;; [unrolled: 1-line block ×4, first 2 shown]
	v_fma_f64 v[106:107], v[232:233], v[70:71], -v[68:69]
	v_fma_f64 v[110:111], v[236:237], v[66:67], -v[64:65]
	;; [unrolled: 1-line block ×3, first 2 shown]
	v_add_f64 v[68:69], v[16:17], -v[36:37]
	v_add_f64 v[70:71], v[18:19], -v[38:39]
	v_add_f64 v[64:65], v[20:21], v[30:31]
	v_add_f64 v[66:67], v[22:23], -v[28:29]
	v_mul_f64 v[138:139], v[222:223], v[58:59]
	v_fma_f64 v[76:77], v[16:17], 2.0, -v[68:69]
	v_fma_f64 v[78:79], v[18:19], 2.0, -v[70:71]
	;; [unrolled: 1-line block ×4, first 2 shown]
	v_add_f64 v[16:17], v[12:13], -v[108:109]
	v_add_f64 v[18:19], v[14:15], -v[110:111]
	;; [unrolled: 1-line block ×4, first 2 shown]
	v_fmac_f64_e32 v[138:139], v[220:221], v[56:57]
	v_mul_f64 v[56:57], v[222:223], v[56:57]
	v_fma_f64 v[12:13], v[12:13], 2.0, -v[16:17]
	v_fma_f64 v[14:15], v[14:15], 2.0, -v[18:19]
	v_fma_f64 v[28:29], v[104:105], 2.0, -v[20:21]
	v_fma_f64 v[30:31], v[106:107], 2.0, -v[22:23]
	v_fma_f64 v[140:141], v[220:221], v[58:59], -v[56:57]
	v_add_f64 v[36:37], v[12:13], -v[28:29]
	v_add_f64 v[38:39], v[14:15], -v[30:31]
	v_add_f64 v[28:29], v[16:17], v[22:23]
	v_add_f64 v[30:31], v[18:19], -v[20:21]
	v_fma_f64 v[60:61], v[12:13], 2.0, -v[36:37]
	v_fma_f64 v[62:63], v[14:15], 2.0, -v[38:39]
	;; [unrolled: 1-line block ×4, first 2 shown]
	v_add_f64 v[12:13], v[8:9], -v[142:143]
	v_add_f64 v[14:15], v[10:11], -v[52:53]
	;; [unrolled: 1-line block ×4, first 2 shown]
	v_fma_f64 v[8:9], v[8:9], 2.0, -v[12:13]
	v_fma_f64 v[10:11], v[10:11], 2.0, -v[14:15]
	;; [unrolled: 1-line block ×4, first 2 shown]
	v_add_f64 v[20:21], v[8:9], -v[20:21]
	v_add_f64 v[22:23], v[10:11], -v[22:23]
	v_fma_f64 v[52:53], v[8:9], 2.0, -v[20:21]
	v_fma_f64 v[54:55], v[10:11], 2.0, -v[22:23]
	v_add_f64 v[16:17], v[12:13], v[16:17]
	v_add_f64 v[18:19], v[14:15], -v[18:19]
	v_add_f64 v[42:43], v[0:1], -v[42:43]
	;; [unrolled: 1-line block ×5, first 2 shown]
	v_fma_f64 v[48:49], v[12:13], 2.0, -v[16:17]
	v_fma_f64 v[50:51], v[14:15], 2.0, -v[18:19]
	;; [unrolled: 1-line block ×6, first 2 shown]
	v_add_f64 v[12:13], v[0:1], -v[12:13]
	v_add_f64 v[14:15], v[2:3], -v[14:15]
	v_add_f64 v[24:25], v[4:5], -v[196:197]
	v_add_f64 v[96:97], v[6:7], -v[198:199]
	v_add_f64 v[98:99], v[26:27], -v[200:201]
	v_add_f64 v[100:101], v[144:145], -v[202:203]
	v_fma_f64 v[44:45], v[0:1], 2.0, -v[12:13]
	v_fma_f64 v[46:47], v[2:3], 2.0, -v[14:15]
	;; [unrolled: 1-line block ×6, first 2 shown]
	s_barrier
	ds_write_b128 v250, v[92:95]
	ds_write_b128 v250, v[88:91] offset:3456
	ds_write_b128 v250, v[80:83] offset:6912
	;; [unrolled: 1-line block ×3, first 2 shown]
	v_accvgpr_read_b32 v80, a31
	v_add_f64 v[8:9], v[42:43], v[8:9]
	v_add_f64 v[10:11], v[32:33], -v[10:11]
	v_add_f64 v[4:5], v[0:1], -v[4:5]
	v_add_f64 v[6:7], v[2:3], -v[6:7]
	ds_write_b128 v80, v[76:79]
	ds_write_b128 v80, v[72:75] offset:3456
	ds_write_b128 v80, v[68:71] offset:6912
	ds_write_b128 v80, v[64:67] offset:10368
	ds_write_b128 v250, v[60:63] offset:14976
	ds_write_b128 v250, v[56:59] offset:18432
	ds_write_b128 v250, v[36:39] offset:21888
	ds_write_b128 v250, v[28:31] offset:25344
	v_accvgpr_read_b32 v28, a30
	v_fma_f64 v[40:41], v[42:43], 2.0, -v[8:9]
	v_fma_f64 v[42:43], v[32:33], 2.0, -v[10:11]
	;; [unrolled: 1-line block ×4, first 2 shown]
	v_add_f64 v[0:1], v[24:25], v[100:101]
	v_add_f64 v[2:3], v[96:97], -v[98:99]
	ds_write_b128 v28, v[52:55] offset:27648
	ds_write_b128 v28, v[48:51] offset:31104
	;; [unrolled: 1-line block ×4, first 2 shown]
	v_accvgpr_read_b32 v16, a29
	v_fma_f64 v[24:25], v[24:25], 2.0, -v[0:1]
	v_fma_f64 v[26:27], v[96:97], 2.0, -v[2:3]
	ds_write_b128 v16, v[44:47]
	ds_write_b128 v16, v[40:43] offset:3456
	ds_write_b128 v16, v[12:15] offset:6912
	;; [unrolled: 1-line block ×3, first 2 shown]
	v_accvgpr_read_b32 v8, a28
	ds_write_b128 v8, v[32:35] offset:41472
	ds_write_b128 v8, v[24:27] offset:44928
	;; [unrolled: 1-line block ×4, first 2 shown]
	s_waitcnt lgkmcnt(0)
	s_barrier
	ds_read_b128 v[4:7], v250
	ds_read_b128 v[36:39], v250 offset:13824
	ds_read_b128 v[28:31], v250 offset:27648
	;; [unrolled: 1-line block ×23, first 2 shown]
	s_waitcnt lgkmcnt(14)
	v_mul_f64 v[96:97], v[186:187], v[38:39]
	v_fmac_f64_e32 v[96:97], v[184:185], v[36:37]
	v_mul_f64 v[36:37], v[186:187], v[36:37]
	v_fma_f64 v[36:37], v[184:185], v[38:39], -v[36:37]
	v_mul_f64 v[38:39], v[190:191], v[30:31]
	v_fmac_f64_e32 v[38:39], v[188:189], v[28:29]
	v_mul_f64 v[28:29], v[190:191], v[28:29]
	v_fma_f64 v[28:29], v[188:189], v[30:31], -v[28:29]
	;; [unrolled: 4-line block ×3, first 2 shown]
	v_mul_f64 v[98:99], v[178:179], v[42:43]
	v_mul_f64 v[26:27], v[178:179], v[40:41]
	v_fmac_f64_e32 v[98:99], v[176:177], v[40:41]
	v_fma_f64 v[40:41], v[176:177], v[42:43], -v[26:27]
	v_mul_f64 v[42:43], v[174:175], v[46:47]
	v_mul_f64 v[26:27], v[174:175], v[44:45]
	v_fmac_f64_e32 v[42:43], v[172:173], v[44:45]
	v_fma_f64 v[44:45], v[172:173], v[46:47], -v[26:27]
	v_mul_f64 v[26:27], v[182:183], v[32:33]
	v_fma_f64 v[100:101], v[180:181], v[34:35], -v[26:27]
	v_mul_f64 v[102:103], v[162:163], v[50:51]
	v_mul_f64 v[26:27], v[162:163], v[48:49]
	v_fmac_f64_e32 v[102:103], v[160:161], v[48:49]
	v_fma_f64 v[48:49], v[160:161], v[50:51], -v[26:27]
	s_waitcnt lgkmcnt(13)
	v_mul_f64 v[50:51], v[166:167], v[54:55]
	v_mul_f64 v[26:27], v[166:167], v[52:53]
	v_fmac_f64_e32 v[50:51], v[164:165], v[52:53]
	v_fma_f64 v[52:53], v[164:165], v[54:55], -v[26:27]
	s_waitcnt lgkmcnt(12)
	;; [unrolled: 5-line block ×9, first 2 shown]
	v_mul_f64 v[108:109], v[118:119], v[86:87]
	v_mul_f64 v[26:27], v[118:119], v[84:85]
	;; [unrolled: 1-line block ×3, first 2 shown]
	v_fmac_f64_e32 v[108:109], v[116:117], v[84:85]
	v_fma_f64 v[84:85], v[116:117], v[86:87], -v[26:27]
	s_waitcnt lgkmcnt(1)
	v_mul_f64 v[86:87], v[114:115], v[90:91]
	v_mul_f64 v[26:27], v[114:115], v[88:89]
	v_fmac_f64_e32 v[46:47], v[180:181], v[32:33]
	v_fmac_f64_e32 v[86:87], v[112:113], v[88:89]
	v_fma_f64 v[88:89], v[112:113], v[90:91], -v[26:27]
	s_waitcnt lgkmcnt(0)
	v_mul_f64 v[90:91], v[122:123], v[94:95]
	v_mul_f64 v[26:27], v[122:123], v[92:93]
	v_add_f64 v[32:33], v[4:5], -v[38:39]
	v_add_f64 v[34:35], v[6:7], -v[28:29]
	;; [unrolled: 1-line block ×4, first 2 shown]
	v_fmac_f64_e32 v[90:91], v[120:121], v[92:93]
	v_fma_f64 v[92:93], v[120:121], v[94:95], -v[26:27]
	v_fma_f64 v[26:27], v[4:5], 2.0, -v[32:33]
	v_fma_f64 v[28:29], v[6:7], 2.0, -v[34:35]
	;; [unrolled: 1-line block ×4, first 2 shown]
	v_add_f64 v[4:5], v[26:27], -v[4:5]
	v_add_f64 v[6:7], v[28:29], -v[6:7]
	;; [unrolled: 1-line block ×6, first 2 shown]
	v_fma_f64 v[24:25], v[26:27], 2.0, -v[4:5]
	v_fma_f64 v[26:27], v[28:29], 2.0, -v[6:7]
	v_add_f64 v[28:29], v[32:33], v[38:39]
	v_fma_f64 v[36:37], v[12:13], 2.0, -v[58:59]
	v_fma_f64 v[38:39], v[14:15], 2.0, -v[70:71]
	;; [unrolled: 1-line block ×4, first 2 shown]
	v_add_f64 v[40:41], v[58:59], v[44:45]
	v_add_f64 v[42:43], v[70:71], -v[42:43]
	v_fma_f64 v[44:45], v[58:59], 2.0, -v[40:41]
	v_fma_f64 v[46:47], v[70:71], 2.0, -v[42:43]
	v_add_f64 v[58:59], v[16:17], -v[50:51]
	v_add_f64 v[70:71], v[18:19], -v[52:53]
	v_add_f64 v[54:55], v[102:103], -v[54:55]
	v_add_f64 v[56:57], v[48:49], -v[56:57]
	v_fma_f64 v[50:51], v[16:17], 2.0, -v[58:59]
	v_fma_f64 v[52:53], v[18:19], 2.0, -v[70:71]
	v_fma_f64 v[16:17], v[102:103], 2.0, -v[54:55]
	v_fma_f64 v[18:19], v[48:49], 2.0, -v[56:57]
	v_add_f64 v[16:17], v[50:51], -v[16:17]
	v_add_f64 v[18:19], v[52:53], -v[18:19]
	v_fma_f64 v[48:49], v[50:51], 2.0, -v[16:17]
	v_fma_f64 v[50:51], v[52:53], 2.0, -v[18:19]
	v_add_f64 v[52:53], v[58:59], v[56:57]
	v_add_f64 v[54:55], v[70:71], -v[54:55]
	v_fma_f64 v[56:57], v[58:59], 2.0, -v[52:53]
	v_fma_f64 v[58:59], v[70:71], 2.0, -v[54:55]
	v_add_f64 v[70:71], v[20:21], -v[62:63]
	v_add_f64 v[82:83], v[22:23], -v[64:65]
	v_add_f64 v[66:67], v[104:105], -v[66:67]
	v_add_f64 v[68:69], v[60:61], -v[68:69]
	v_fma_f64 v[62:63], v[20:21], 2.0, -v[70:71]
	v_fma_f64 v[64:65], v[22:23], 2.0, -v[82:83]
	v_fma_f64 v[20:21], v[104:105], 2.0, -v[66:67]
	v_fma_f64 v[22:23], v[60:61], 2.0, -v[68:69]
	v_add_f64 v[20:21], v[62:63], -v[20:21]
	v_add_f64 v[22:23], v[64:65], -v[22:23]
	v_fma_f64 v[60:61], v[62:63], 2.0, -v[20:21]
	v_fma_f64 v[62:63], v[64:65], 2.0, -v[22:23]
	;; [unrolled: 16-line block ×3, first 2 shown]
	v_add_f64 v[76:77], v[82:83], v[80:81]
	v_add_f64 v[78:79], v[94:95], -v[78:79]
	v_fma_f64 v[80:81], v[82:83], 2.0, -v[76:77]
	v_fma_f64 v[82:83], v[94:95], 2.0, -v[78:79]
	v_add_f64 v[94:95], v[0:1], -v[86:87]
	v_add_f64 v[96:97], v[2:3], -v[88:89]
	;; [unrolled: 1-line block ×4, first 2 shown]
	v_fma_f64 v[86:87], v[0:1], 2.0, -v[94:95]
	v_fma_f64 v[88:89], v[2:3], 2.0, -v[96:97]
	;; [unrolled: 1-line block ×4, first 2 shown]
	v_add_f64 v[0:1], v[86:87], -v[0:1]
	v_add_f64 v[2:3], v[88:89], -v[2:3]
	;; [unrolled: 1-line block ×5, first 2 shown]
	v_fma_f64 v[84:85], v[86:87], 2.0, -v[0:1]
	v_fma_f64 v[86:87], v[88:89], 2.0, -v[2:3]
	v_add_f64 v[88:89], v[94:95], v[92:93]
	v_add_f64 v[90:91], v[96:97], -v[90:91]
	v_fma_f64 v[32:33], v[32:33], 2.0, -v[28:29]
	v_fma_f64 v[34:35], v[34:35], 2.0, -v[30:31]
	v_fma_f64 v[36:37], v[36:37], 2.0, -v[12:13]
	v_fma_f64 v[38:39], v[38:39], 2.0, -v[14:15]
	v_fma_f64 v[92:93], v[94:95], 2.0, -v[88:89]
	v_fma_f64 v[94:95], v[96:97], 2.0, -v[90:91]
	ds_write_b128 v250, v[24:27]
	ds_write_b128 v250, v[32:35] offset:13824
	ds_write_b128 v250, v[4:7] offset:27648
	;; [unrolled: 1-line block ×23, first 2 shown]
	v_accvgpr_read_b32 v9, a32              ;  Reload Reuse
	v_accvgpr_read_b32 v8, a33              ;  Reload Reuse
	s_waitcnt lgkmcnt(0)
	s_barrier
	scratch_load_dwordx2 v[6:7], off, off offset:12 ; 8-byte Folded Reload
	scratch_load_dwordx4 v[12:15], off, off offset:36 ; 16-byte Folded Reload
	ds_read_b128 v[0:3], v250
	s_mov_b32 s2, 0xbda12f68
	s_mov_b32 s3, 0x3f32f684
	s_waitcnt lgkmcnt(0)
	v_mul_f64 v[4:5], v[8:9], v[2:3]
	s_waitcnt vmcnt(1)
	v_fmac_f64_e32 v[4:5], v[6:7], v[0:1]
	v_mul_f64 v[0:1], v[8:9], v[0:1]
	v_fma_f64 v[0:1], v[6:7], v[2:3], -v[0:1]
	v_mul_f64 v[6:7], v[0:1], s[2:3]
	v_mad_u64_u32 v[0:1], s[4:5], s0, v146, 0
	v_mov_b32_e32 v2, v1
	v_mad_u64_u32 v[2:3], s[4:5], s1, v146, v[2:3]
	v_mov_b32_e32 v1, v2
	v_accvgpr_read_b32 v2, a202
	v_accvgpr_read_b32 v8, a126
	;; [unrolled: 1-line block ×4, first 2 shown]
	v_lshl_add_u64 v[8:9], v[8:9], 4, v[2:3]
	v_lshl_add_u64 v[10:11], v[0:1], 4, v[8:9]
	ds_read_b128 v[0:3], v250 offset:9216
	v_mul_f64 v[4:5], v[4:5], s[2:3]
	global_store_dwordx4 v[10:11], v[4:7], off
	s_waitcnt vmcnt(1) lgkmcnt(0)
	s_nop 0
	v_mul_f64 v[4:5], v[14:15], v[2:3]
	v_fmac_f64_e32 v[4:5], v[12:13], v[0:1]
	v_mul_f64 v[0:1], v[14:15], v[0:1]
	scratch_load_dwordx4 v[14:17], off, off offset:72 ; 16-byte Folded Reload
	v_fma_f64 v[0:1], v[12:13], v[2:3], -v[0:1]
	v_mul_f64 v[6:7], v[0:1], s[2:3]
	ds_read_b128 v[0:3], v250 offset:18432
	v_mov_b32_e32 v12, 0x2400
	v_mad_u64_u32 v[10:11], s[4:5], s0, v12, v[10:11]
	s_mul_i32 s4, s1, 0x2400
	v_mul_f64 v[4:5], v[4:5], s[2:3]
	v_add_u32_e32 v11, s4, v11
	global_store_dwordx4 v[10:11], v[4:7], off
	v_mad_u64_u32 v[10:11], s[6:7], s0, v12, v[10:11]
	v_add_u32_e32 v11, s4, v11
	s_mul_i32 s5, s1, 0x4800
	s_waitcnt vmcnt(1) lgkmcnt(0)
	v_mul_f64 v[4:5], v[16:17], v[2:3]
	v_fmac_f64_e32 v[4:5], v[14:15], v[0:1]
	v_mul_f64 v[0:1], v[16:17], v[0:1]
	v_fma_f64 v[0:1], v[14:15], v[2:3], -v[0:1]
	scratch_load_dwordx4 v[14:17], off, off offset:92 ; 16-byte Folded Reload
	v_mul_f64 v[6:7], v[0:1], s[2:3]
	ds_read_b128 v[0:3], v250 offset:27648
	v_mul_f64 v[4:5], v[4:5], s[2:3]
	global_store_dwordx4 v[10:11], v[4:7], off
	v_mad_u64_u32 v[10:11], s[6:7], s0, v12, v[10:11]
	v_add_u32_e32 v11, s4, v11
	v_mov_b32_e32 v12, 0x2400
	s_waitcnt vmcnt(1) lgkmcnt(0)
	v_mul_f64 v[4:5], v[16:17], v[2:3]
	v_fmac_f64_e32 v[4:5], v[14:15], v[0:1]
	v_mul_f64 v[0:1], v[16:17], v[0:1]
	v_fma_f64 v[0:1], v[14:15], v[2:3], -v[0:1]
	scratch_load_dwordx4 v[14:17], off, off offset:108 ; 16-byte Folded Reload
	v_mul_f64 v[6:7], v[0:1], s[2:3]
	ds_read_b128 v[0:3], v250 offset:36864
	v_mul_f64 v[4:5], v[4:5], s[2:3]
	global_store_dwordx4 v[10:11], v[4:7], off
	s_waitcnt vmcnt(1) lgkmcnt(0)
	s_nop 0
	v_mul_f64 v[4:5], v[16:17], v[2:3]
	v_fmac_f64_e32 v[4:5], v[14:15], v[0:1]
	v_mul_f64 v[0:1], v[16:17], v[0:1]
	v_fma_f64 v[0:1], v[14:15], v[2:3], -v[0:1]
	scratch_load_dword v3, off, off offset:28 ; 4-byte Folded Reload
	v_mul_f64 v[6:7], v[0:1], s[2:3]
	v_mul_f64 v[4:5], v[4:5], s[2:3]
	v_accvgpr_read_b32 v14, a34
	v_accvgpr_read_b32 v16, a36
	;; [unrolled: 1-line block ×4, first 2 shown]
	s_waitcnt vmcnt(0)
	v_mad_u64_u32 v[0:1], s[6:7], s0, v3, 0
	v_mov_b32_e32 v2, v1
	v_mad_u64_u32 v[2:3], s[6:7], s1, v3, v[2:3]
	v_mov_b32_e32 v1, v2
	v_lshl_add_u64 v[0:1], v[0:1], 4, v[8:9]
	global_store_dwordx4 v[0:1], v[4:7], off
	scratch_load_dwordx4 v[6:9], off, off offset:132 ; 16-byte Folded Reload
	ds_read_b128 v[0:3], v250 offset:46080
	s_mul_i32 s1, s1, 0xffff5500
	s_sub_i32 s1, s1, s0
	s_waitcnt vmcnt(0) lgkmcnt(0)
	v_mul_f64 v[4:5], v[8:9], v[2:3]
	v_fmac_f64_e32 v[4:5], v[6:7], v[0:1]
	v_mul_f64 v[0:1], v[8:9], v[0:1]
	v_fma_f64 v[0:1], v[6:7], v[2:3], -v[0:1]
	v_mul_f64 v[6:7], v[0:1], s[2:3]
	v_mov_b32_e32 v0, 0x4800
	v_mad_u64_u32 v[8:9], s[6:7], s0, v0, v[10:11]
	ds_read_b128 v[0:3], v250 offset:2304
	v_mul_f64 v[4:5], v[4:5], s[2:3]
	v_add_u32_e32 v9, s5, v9
	global_store_dwordx4 v[8:9], v[4:7], off
	v_mov_b32_e32 v10, 0xffff5500
	v_mad_u64_u32 v[8:9], s[6:7], s0, v10, v[8:9]
	s_waitcnt lgkmcnt(0)
	v_mul_f64 v[4:5], v[16:17], v[2:3]
	v_fmac_f64_e32 v[4:5], v[14:15], v[0:1]
	v_mul_f64 v[0:1], v[16:17], v[0:1]
	v_fma_f64 v[0:1], v[14:15], v[2:3], -v[0:1]
	v_mul_f64 v[6:7], v[0:1], s[2:3]
	ds_read_b128 v[0:3], v250 offset:11520
	v_accvgpr_read_b32 v14, a38
	v_mul_f64 v[4:5], v[4:5], s[2:3]
	v_add_u32_e32 v9, s1, v9
	v_accvgpr_read_b32 v16, a40
	v_accvgpr_read_b32 v17, a41
	global_store_dwordx4 v[8:9], v[4:7], off
	v_accvgpr_read_b32 v15, a39
	v_mad_u64_u32 v[8:9], s[6:7], s0, v12, v[8:9]
	s_waitcnt lgkmcnt(0)
	v_mul_f64 v[4:5], v[16:17], v[2:3]
	v_fmac_f64_e32 v[4:5], v[14:15], v[0:1]
	v_mul_f64 v[0:1], v[16:17], v[0:1]
	v_fma_f64 v[0:1], v[14:15], v[2:3], -v[0:1]
	v_mul_f64 v[6:7], v[0:1], s[2:3]
	ds_read_b128 v[0:3], v250 offset:20736
	v_accvgpr_read_b32 v14, a42
	v_mul_f64 v[4:5], v[4:5], s[2:3]
	v_add_u32_e32 v9, s4, v9
	v_accvgpr_read_b32 v16, a44
	v_accvgpr_read_b32 v17, a45
	global_store_dwordx4 v[8:9], v[4:7], off
	v_accvgpr_read_b32 v15, a43
	;; [unrolled: 15-line block ×12, first 2 shown]
	v_mov_b32_e32 v10, 0xffff5500
	s_waitcnt lgkmcnt(0)
	v_mul_f64 v[4:5], v[16:17], v[2:3]
	v_fmac_f64_e32 v[4:5], v[14:15], v[0:1]
	v_mul_f64 v[0:1], v[16:17], v[0:1]
	v_fma_f64 v[0:1], v[14:15], v[2:3], -v[0:1]
	v_mul_f64 v[6:7], v[0:1], s[2:3]
	ds_read_b128 v[0:3], v250 offset:16128
	v_mad_u64_u32 v[8:9], s[6:7], s0, v10, v[8:9]
	v_accvgpr_read_b32 v14, a86
	v_mul_f64 v[4:5], v[4:5], s[2:3]
	v_add_u32_e32 v9, s1, v9
	v_accvgpr_read_b32 v16, a88
	v_accvgpr_read_b32 v17, a89
	global_store_dwordx4 v[8:9], v[4:7], off
	v_accvgpr_read_b32 v15, a87
	v_mad_u64_u32 v[8:9], s[6:7], s0, v12, v[8:9]
	s_waitcnt lgkmcnt(0)
	v_mul_f64 v[4:5], v[16:17], v[2:3]
	v_fmac_f64_e32 v[4:5], v[14:15], v[0:1]
	v_mul_f64 v[0:1], v[16:17], v[0:1]
	v_fma_f64 v[0:1], v[14:15], v[2:3], -v[0:1]
	v_mul_f64 v[6:7], v[0:1], s[2:3]
	ds_read_b128 v[0:3], v250 offset:25344
	v_accvgpr_read_b32 v14, a90
	v_mul_f64 v[4:5], v[4:5], s[2:3]
	v_add_u32_e32 v9, s4, v9
	v_accvgpr_read_b32 v16, a92
	v_accvgpr_read_b32 v17, a93
	global_store_dwordx4 v[8:9], v[4:7], off
	v_accvgpr_read_b32 v15, a91
	v_mad_u64_u32 v[8:9], s[6:7], s0, v12, v[8:9]
	s_waitcnt lgkmcnt(0)
	v_mul_f64 v[4:5], v[16:17], v[2:3]
	v_fmac_f64_e32 v[4:5], v[14:15], v[0:1]
	v_mul_f64 v[0:1], v[16:17], v[0:1]
	v_fma_f64 v[0:1], v[14:15], v[2:3], -v[0:1]
	v_mul_f64 v[6:7], v[0:1], s[2:3]
	ds_read_b128 v[0:3], v250 offset:34560
	;; [unrolled: 15-line block ×3, first 2 shown]
	v_accvgpr_read_b32 v14, a98
	v_mul_f64 v[4:5], v[4:5], s[2:3]
	v_add_u32_e32 v11, s4, v11
	v_accvgpr_read_b32 v16, a100
	v_accvgpr_read_b32 v17, a101
	global_store_dwordx4 v[10:11], v[4:7], off
	v_accvgpr_read_b32 v15, a99
	s_waitcnt lgkmcnt(0)
	v_mul_f64 v[4:5], v[16:17], v[2:3]
	v_fmac_f64_e32 v[4:5], v[14:15], v[0:1]
	v_mul_f64 v[0:1], v[16:17], v[0:1]
	v_mul_f64 v[6:7], v[4:5], s[2:3]
	v_fma_f64 v[0:1], v[14:15], v[2:3], -v[0:1]
	v_mad_u64_u32 v[4:5], s[6:7], s0, v12, v[10:11]
	v_mul_f64 v[8:9], v[0:1], s[2:3]
	v_add_u32_e32 v5, s4, v5
	global_store_dwordx4 v[4:5], v[6:9], off
	scratch_load_dwordx4 v[8:11], off, off offset:52 ; 16-byte Folded Reload
	ds_read_b128 v[0:3], v250 offset:52992
	s_waitcnt vmcnt(0) lgkmcnt(0)
	v_mul_f64 v[6:7], v[10:11], v[2:3]
	v_fmac_f64_e32 v[6:7], v[8:9], v[0:1]
	v_mul_f64 v[0:1], v[10:11], v[0:1]
	v_fma_f64 v[0:1], v[8:9], v[2:3], -v[0:1]
	v_mul_f64 v[8:9], v[0:1], s[2:3]
	v_mad_u64_u32 v[0:1], s[0:1], s0, v12, v[4:5]
	v_mul_f64 v[6:7], v[6:7], s[2:3]
	v_add_u32_e32 v1, s4, v1
	global_store_dwordx4 v[0:1], v[6:9], off
.LBB0_2:
	s_endpgm
	.section	.rodata,"a",@progbits
	.p2align	6, 0x0
	.amdhsa_kernel bluestein_single_back_len3456_dim1_dp_op_CI_CI
		.amdhsa_group_segment_fixed_size 55296
		.amdhsa_private_segment_fixed_size 152
		.amdhsa_kernarg_size 104
		.amdhsa_user_sgpr_count 2
		.amdhsa_user_sgpr_dispatch_ptr 0
		.amdhsa_user_sgpr_queue_ptr 0
		.amdhsa_user_sgpr_kernarg_segment_ptr 1
		.amdhsa_user_sgpr_dispatch_id 0
		.amdhsa_user_sgpr_kernarg_preload_length 0
		.amdhsa_user_sgpr_kernarg_preload_offset 0
		.amdhsa_user_sgpr_private_segment_size 0
		.amdhsa_uses_dynamic_stack 0
		.amdhsa_enable_private_segment 1
		.amdhsa_system_sgpr_workgroup_id_x 1
		.amdhsa_system_sgpr_workgroup_id_y 0
		.amdhsa_system_sgpr_workgroup_id_z 0
		.amdhsa_system_sgpr_workgroup_info 0
		.amdhsa_system_vgpr_workitem_id 0
		.amdhsa_next_free_vgpr 512
		.amdhsa_next_free_sgpr 26
		.amdhsa_accum_offset 256
		.amdhsa_reserve_vcc 1
		.amdhsa_float_round_mode_32 0
		.amdhsa_float_round_mode_16_64 0
		.amdhsa_float_denorm_mode_32 3
		.amdhsa_float_denorm_mode_16_64 3
		.amdhsa_dx10_clamp 1
		.amdhsa_ieee_mode 1
		.amdhsa_fp16_overflow 0
		.amdhsa_tg_split 0
		.amdhsa_exception_fp_ieee_invalid_op 0
		.amdhsa_exception_fp_denorm_src 0
		.amdhsa_exception_fp_ieee_div_zero 0
		.amdhsa_exception_fp_ieee_overflow 0
		.amdhsa_exception_fp_ieee_underflow 0
		.amdhsa_exception_fp_ieee_inexact 0
		.amdhsa_exception_int_div_zero 0
	.end_amdhsa_kernel
	.text
.Lfunc_end0:
	.size	bluestein_single_back_len3456_dim1_dp_op_CI_CI, .Lfunc_end0-bluestein_single_back_len3456_dim1_dp_op_CI_CI
                                        ; -- End function
	.section	.AMDGPU.csdata,"",@progbits
; Kernel info:
; codeLenInByte = 31556
; NumSgprs: 32
; NumVgprs: 256
; NumAgprs: 256
; TotalNumVgprs: 512
; ScratchSize: 152
; MemoryBound: 0
; FloatMode: 240
; IeeeMode: 1
; LDSByteSize: 55296 bytes/workgroup (compile time only)
; SGPRBlocks: 3
; VGPRBlocks: 63
; NumSGPRsForWavesPerEU: 32
; NumVGPRsForWavesPerEU: 512
; AccumOffset: 256
; Occupancy: 1
; WaveLimiterHint : 1
; COMPUTE_PGM_RSRC2:SCRATCH_EN: 1
; COMPUTE_PGM_RSRC2:USER_SGPR: 2
; COMPUTE_PGM_RSRC2:TRAP_HANDLER: 0
; COMPUTE_PGM_RSRC2:TGID_X_EN: 1
; COMPUTE_PGM_RSRC2:TGID_Y_EN: 0
; COMPUTE_PGM_RSRC2:TGID_Z_EN: 0
; COMPUTE_PGM_RSRC2:TIDIG_COMP_CNT: 0
; COMPUTE_PGM_RSRC3_GFX90A:ACCUM_OFFSET: 63
; COMPUTE_PGM_RSRC3_GFX90A:TG_SPLIT: 0
	.text
	.p2alignl 6, 3212836864
	.fill 256, 4, 3212836864
	.type	__hip_cuid_32b73da76993cdf1,@object ; @__hip_cuid_32b73da76993cdf1
	.section	.bss,"aw",@nobits
	.globl	__hip_cuid_32b73da76993cdf1
__hip_cuid_32b73da76993cdf1:
	.byte	0                               ; 0x0
	.size	__hip_cuid_32b73da76993cdf1, 1

	.ident	"AMD clang version 19.0.0git (https://github.com/RadeonOpenCompute/llvm-project roc-6.4.0 25133 c7fe45cf4b819c5991fe208aaa96edf142730f1d)"
	.section	".note.GNU-stack","",@progbits
	.addrsig
	.addrsig_sym __hip_cuid_32b73da76993cdf1
	.amdgpu_metadata
---
amdhsa.kernels:
  - .agpr_count:     256
    .args:
      - .actual_access:  read_only
        .address_space:  global
        .offset:         0
        .size:           8
        .value_kind:     global_buffer
      - .actual_access:  read_only
        .address_space:  global
        .offset:         8
        .size:           8
        .value_kind:     global_buffer
      - .actual_access:  read_only
        .address_space:  global
        .offset:         16
        .size:           8
        .value_kind:     global_buffer
      - .actual_access:  read_only
        .address_space:  global
        .offset:         24
        .size:           8
        .value_kind:     global_buffer
      - .actual_access:  read_only
        .address_space:  global
        .offset:         32
        .size:           8
        .value_kind:     global_buffer
      - .offset:         40
        .size:           8
        .value_kind:     by_value
      - .address_space:  global
        .offset:         48
        .size:           8
        .value_kind:     global_buffer
      - .address_space:  global
        .offset:         56
        .size:           8
        .value_kind:     global_buffer
      - .address_space:  global
        .offset:         64
        .size:           8
        .value_kind:     global_buffer
      - .address_space:  global
        .offset:         72
        .size:           8
        .value_kind:     global_buffer
      - .offset:         80
        .size:           4
        .value_kind:     by_value
      - .address_space:  global
        .offset:         88
        .size:           8
        .value_kind:     global_buffer
      - .address_space:  global
        .offset:         96
        .size:           8
        .value_kind:     global_buffer
    .group_segment_fixed_size: 55296
    .kernarg_segment_align: 8
    .kernarg_segment_size: 104
    .language:       OpenCL C
    .language_version:
      - 2
      - 0
    .max_flat_workgroup_size: 144
    .name:           bluestein_single_back_len3456_dim1_dp_op_CI_CI
    .private_segment_fixed_size: 152
    .sgpr_count:     32
    .sgpr_spill_count: 0
    .symbol:         bluestein_single_back_len3456_dim1_dp_op_CI_CI.kd
    .uniform_work_group_size: 1
    .uses_dynamic_stack: false
    .vgpr_count:     512
    .vgpr_spill_count: 37
    .wavefront_size: 64
amdhsa.target:   amdgcn-amd-amdhsa--gfx950
amdhsa.version:
  - 1
  - 2
...

	.end_amdgpu_metadata
